;; amdgpu-corpus repo=ROCm/rocFFT kind=compiled arch=gfx950 opt=O3
	.text
	.amdgcn_target "amdgcn-amd-amdhsa--gfx950"
	.amdhsa_code_object_version 6
	.protected	bluestein_single_fwd_len810_dim1_sp_op_CI_CI ; -- Begin function bluestein_single_fwd_len810_dim1_sp_op_CI_CI
	.globl	bluestein_single_fwd_len810_dim1_sp_op_CI_CI
	.p2align	8
	.type	bluestein_single_fwd_len810_dim1_sp_op_CI_CI,@function
bluestein_single_fwd_len810_dim1_sp_op_CI_CI: ; @bluestein_single_fwd_len810_dim1_sp_op_CI_CI
; %bb.0:
	s_load_dwordx4 s[8:11], s[0:1], 0x28
	v_mul_u32_u24_e32 v1, 0x32a, v0
	v_mov_b32_e32 v87, 0
	v_add_u32_sdwa v96, s2, v1 dst_sel:DWORD dst_unused:UNUSED_PAD src0_sel:DWORD src1_sel:WORD_1
	v_mov_b32_e32 v97, v87
	s_waitcnt lgkmcnt(0)
	v_cmp_gt_u64_e32 vcc, s[8:9], v[96:97]
	s_and_saveexec_b64 s[2:3], vcc
	s_cbranch_execz .LBB0_39
; %bb.1:
	s_load_dwordx4 s[4:7], s[0:1], 0x18
	s_load_dwordx2 s[14:15], s[0:1], 0x0
	v_mov_b32_e32 v2, s10
	v_mov_b32_e32 v3, s11
	s_movk_i32 s2, 0x51
	s_waitcnt lgkmcnt(0)
	s_load_dwordx4 s[8:11], s[4:5], 0x0
	v_mul_lo_u16_sdwa v1, v1, s2 dst_sel:DWORD dst_unused:UNUSED_PAD src0_sel:WORD_1 src1_sel:DWORD
	v_sub_u16_e32 v86, v0, v1
	v_lshlrev_b32_e32 v80, 3, v86
	v_mov_b32_e32 v81, v87
	s_waitcnt lgkmcnt(0)
	v_mad_u64_u32 v[0:1], s[2:3], s10, v96, 0
	v_mov_b32_e32 v4, v1
	v_mad_u64_u32 v[4:5], s[2:3], s11, v96, v[4:5]
	v_mov_b32_e32 v1, v4
	v_mad_u64_u32 v[4:5], s[2:3], s8, v86, 0
	v_mov_b32_e32 v6, v5
	v_mad_u64_u32 v[6:7], s[2:3], s9, v86, v[6:7]
	s_mul_i32 s2, s9, 0x10e
	s_mul_hi_u32 s3, s8, 0x10e
	v_mov_b32_e32 v5, v6
	v_lshl_add_u64 v[0:1], v[0:1], 3, v[2:3]
	s_add_i32 s3, s3, s2
	s_mul_i32 s2, s8, 0x10e
	v_lshl_add_u64 v[0:1], v[4:5], 3, v[0:1]
	s_lshl_b64 s[16:17], s[2:3], 3
	v_lshl_add_u64 v[82:83], s[14:15], 0, v[80:81]
	v_lshl_add_u64 v[2:3], v[0:1], 0, s[16:17]
	s_movk_i32 s2, 0x1000
	s_mul_hi_u32 s3, s8, 0xfffffe35
	global_load_dwordx2 v[104:105], v80, s[14:15]
	global_load_dwordx2 v[102:103], v80, s[14:15] offset:2160
	v_lshl_add_u64 v[4:5], v[2:3], 0, s[16:17]
	global_load_dwordx2 v[6:7], v[0:1], off
	global_load_dwordx2 v[8:9], v[2:3], off
	;; [unrolled: 1-line block ×3, first 2 shown]
	v_add_co_u32_e32 v0, vcc, s2, v82
	s_mul_i32 s2, s9, 0xfffffe35
	s_sub_i32 s3, s3, s8
	s_add_i32 s19, s3, s2
	s_mul_i32 s18, s8, 0xfffffe35
	s_lshl_b64 s[2:3], s[18:19], 3
	v_addc_co_u32_e32 v1, vcc, 0, v83, vcc
	v_lshl_add_u64 v[2:3], v[4:5], 0, s[2:3]
	global_load_dwordx2 v[98:99], v[0:1], off offset:224
	global_load_dwordx2 v[100:101], v80, s[14:15] offset:648
	global_load_dwordx2 v[4:5], v[2:3], off
	v_lshl_add_u64 v[2:3], v[2:3], 0, s[16:17]
	global_load_dwordx2 v[12:13], v[2:3], off
	global_load_dwordx2 v[94:95], v80, s[14:15] offset:2808
	v_lshl_add_u64 v[2:3], v[2:3], 0, s[16:17]
	global_load_dwordx2 v[14:15], v[2:3], off
	global_load_dwordx2 v[92:93], v[0:1], off offset:872
	v_lshl_add_u64 v[2:3], v[2:3], 0, s[2:3]
	global_load_dwordx2 v[16:17], v[2:3], off
	global_load_dwordx2 v[90:91], v80, s[14:15] offset:1296
	v_lshl_add_u64 v[2:3], v[2:3], 0, s[16:17]
	global_load_dwordx2 v[18:19], v[2:3], off
	global_load_dwordx2 v[88:89], v80, s[14:15] offset:3456
	v_lshl_add_u64 v[2:3], v[2:3], 0, s[16:17]
	global_load_dwordx2 v[84:85], v[0:1], off offset:1520
	global_load_dwordx2 v[20:21], v[2:3], off
	s_load_dwordx2 s[12:13], s[0:1], 0x38
	s_load_dwordx4 s[8:11], s[6:7], 0x0
	v_cmp_lt_u16_e64 s[2:3], 26, v86
	v_cmp_gt_u16_e64 s[4:5], 27, v86
	s_waitcnt vmcnt(15)
	v_mul_f32_e32 v22, v7, v105
	v_mul_f32_e32 v23, v6, v105
	v_fmac_f32_e32 v22, v6, v104
	v_fma_f32 v23, v7, v104, -v23
	s_waitcnt vmcnt(14)
	v_mul_f32_e32 v6, v9, v103
	v_mul_f32_e32 v7, v8, v103
	v_fmac_f32_e32 v6, v8, v102
	v_fma_f32 v7, v9, v102, -v7
	ds_write_b64 v80, v[6:7] offset:2160
	s_waitcnt vmcnt(12)
	v_mul_f32_e32 v8, v11, v99
	v_mul_f32_e32 v9, v10, v99
	s_waitcnt vmcnt(10)
	v_mul_f32_e32 v6, v5, v101
	v_fmac_f32_e32 v8, v10, v98
	v_fma_f32 v9, v11, v98, -v9
	v_mul_f32_e32 v7, v4, v101
	v_fmac_f32_e32 v6, v4, v100
	s_waitcnt vmcnt(8)
	v_mul_f32_e32 v4, v12, v95
	ds_write_b64 v80, v[8:9] offset:4320
	v_fma_f32 v7, v5, v100, -v7
	v_fma_f32 v9, v13, v94, -v4
	s_waitcnt vmcnt(6)
	v_mul_f32_e32 v4, v14, v93
	ds_write2_b64 v80, v[22:23], v[6:7] offset1:81
	v_fma_f32 v7, v15, v92, -v4
	s_waitcnt vmcnt(4)
	v_mul_f32_e32 v4, v17, v91
	v_mul_f32_e32 v5, v16, v91
	;; [unrolled: 1-line block ×3, first 2 shown]
	v_fmac_f32_e32 v4, v16, v90
	v_fma_f32 v5, v17, v90, -v5
	s_waitcnt vmcnt(2)
	v_mul_f32_e32 v10, v19, v89
	v_mul_f32_e32 v11, v18, v89
	v_fmac_f32_e32 v8, v12, v94
	ds_write_b64 v80, v[4:5] offset:1296
	v_fmac_f32_e32 v10, v18, v88
	v_fma_f32 v11, v19, v88, -v11
	v_add_u32_e32 v4, 0x800, v80
	v_mul_f32_e32 v6, v15, v93
	ds_write2_b64 v4, v[8:9], v[10:11] offset0:95 offset1:176
	s_waitcnt vmcnt(0)
	v_mul_f32_e32 v8, v21, v85
	v_mul_f32_e32 v5, v20, v85
	v_fmac_f32_e32 v6, v14, v92
	v_fmac_f32_e32 v8, v20, v84
	v_fma_f32 v9, v21, v84, -v5
	v_add_u32_e32 v5, 0x1000, v80
	ds_write2_b64 v5, v[6:7], v[8:9] offset0:109 offset1:190
	s_and_saveexec_b64 s[6:7], s[4:5]
	s_cbranch_execz .LBB0_3
; %bb.2:
	v_lshl_add_u64 v[2:3], s[18:19], 3, v[2:3]
	global_load_dwordx2 v[6:7], v[2:3], off
	global_load_dwordx2 v[8:9], v[82:83], off offset:1944
	v_lshl_add_u64 v[2:3], v[2:3], 0, s[16:17]
	global_load_dwordx2 v[10:11], v[2:3], off
	global_load_dwordx2 v[12:13], v[0:1], off offset:8
	global_load_dwordx2 v[14:15], v[0:1], off offset:2168
	v_lshl_add_u64 v[0:1], v[2:3], 0, s[16:17]
	global_load_dwordx2 v[0:1], v[0:1], off
	s_waitcnt vmcnt(4)
	v_mul_f32_e32 v2, v7, v9
	v_mul_f32_e32 v3, v6, v9
	v_fmac_f32_e32 v2, v6, v8
	v_fma_f32 v3, v7, v8, -v3
	s_waitcnt vmcnt(2)
	v_mul_f32_e32 v6, v11, v13
	v_mul_f32_e32 v7, v10, v13
	ds_write_b64 v80, v[2:3] offset:1944
	s_waitcnt vmcnt(0)
	v_mul_f32_e32 v2, v1, v15
	v_mul_f32_e32 v3, v0, v15
	v_fmac_f32_e32 v6, v10, v12
	v_fma_f32 v7, v11, v12, -v7
	v_fmac_f32_e32 v2, v0, v14
	v_fma_f32 v3, v1, v14, -v3
	ds_write_b64 v80, v[6:7] offset:4104
	ds_write_b64 v80, v[2:3] offset:6264
.LBB0_3:
	s_or_b64 exec, exec, s[6:7]
	v_add_u32_e32 v0, 0x400, v80
	s_waitcnt lgkmcnt(0)
	s_barrier
	ds_read2_b64 v[8:11], v80 offset1:81
	ds_read2_b64 v[0:3], v0 offset0:34 offset1:142
	ds_read2_b64 v[12:15], v5 offset0:28 offset1:109
	;; [unrolled: 1-line block ×3, first 2 shown]
	ds_read_b64 v[22:23], v80 offset:5616
	s_load_dwordx2 s[0:1], s[0:1], 0x8
                                        ; implicit-def: $vgpr16
                                        ; implicit-def: $vgpr18
                                        ; implicit-def: $vgpr20
	s_and_saveexec_b64 s[6:7], s[4:5]
	s_cbranch_execz .LBB0_5
; %bb.4:
	ds_read_b64 v[16:17], v80 offset:1944
	ds_read_b64 v[18:19], v80 offset:4104
	;; [unrolled: 1-line block ×3, first 2 shown]
.LBB0_5:
	s_or_b64 exec, exec, s[6:7]
	s_mov_b64 s[6:7], 0x51
	v_lshl_add_u64 v[112:113], v[86:87], 0, s[6:7]
	s_mov_b64 s[6:7], 0xa2
	v_lshl_add_u64 v[110:111], v[86:87], 0, s[6:7]
	;; [unrolled: 2-line block ×3, first 2 shown]
	s_waitcnt lgkmcnt(0)
	v_pk_add_f32 v[30:31], v[18:19], v[20:21]
	v_pk_add_f32 v[32:33], v[18:19], v[20:21] neg_lo:[0,1] neg_hi:[0,1]
	s_mov_b32 s6, 0x3f5db3d7
	v_pk_fma_f32 v[30:31], v[30:31], 0.5, v[16:17] op_sel_hi:[1,0,1] neg_lo:[1,0,0] neg_hi:[1,0,0]
	v_pk_mul_f32 v[32:33], v[32:33], s[6:7] op_sel_hi:[1,0]
	v_pk_add_f32 v[24:25], v[8:9], v[2:3]
	v_pk_add_f32 v[48:49], v[30:31], v[32:33] op_sel:[0,1] op_sel_hi:[1,0] neg_lo:[0,1] neg_hi:[0,1]
	v_pk_add_f32 v[50:51], v[30:31], v[32:33] op_sel:[0,1] op_sel_hi:[1,0]
	v_mul_lo_u16_e32 v30, 3, v86
	v_lshlrev_b32_e32 v97, 3, v30
	v_pk_add_f32 v[30:31], v[2:3], v[12:13]
	v_pk_add_f32 v[2:3], v[2:3], v[12:13] neg_lo:[0,1] neg_hi:[0,1]
	v_pk_fma_f32 v[8:9], v[30:31], 0.5, v[8:9] op_sel_hi:[1,0,1] neg_lo:[1,0,0] neg_hi:[1,0,0]
	v_pk_mul_f32 v[2:3], v[2:3], s[6:7] op_sel_hi:[1,0]
	v_pk_add_f32 v[24:25], v[24:25], v[12:13]
	v_pk_add_f32 v[12:13], v[8:9], v[2:3] op_sel:[0,1] op_sel_hi:[1,0]
	v_pk_add_f32 v[2:3], v[8:9], v[2:3] op_sel:[0,1] op_sel_hi:[1,0] neg_lo:[0,1] neg_hi:[0,1]
	v_mov_b32_e32 v8, v12
	v_mov_b32_e32 v9, v3
	v_pk_add_f32 v[26:27], v[10:11], v[4:5]
	s_barrier
	ds_write2_b64 v97, v[24:25], v[8:9] offset1:1
	v_pk_add_f32 v[8:9], v[4:5], v[14:15]
	v_pk_add_f32 v[4:5], v[4:5], v[14:15] neg_lo:[0,1] neg_hi:[0,1]
	v_mov_b32_e32 v3, v13
	v_pk_fma_f32 v[8:9], v[8:9], 0.5, v[10:11] op_sel_hi:[1,0,1] neg_lo:[1,0,0] neg_hi:[1,0,0]
	v_pk_mul_f32 v[4:5], v[4:5], s[6:7] op_sel_hi:[1,0]
	ds_write_b64 v97, v[2:3] offset:16
	v_mul_u32_u24_e32 v2, 3, v112
	v_pk_add_f32 v[10:11], v[8:9], v[4:5] op_sel:[0,1] op_sel_hi:[1,0]
	v_pk_add_f32 v[4:5], v[8:9], v[4:5] op_sel:[0,1] op_sel_hi:[1,0] neg_lo:[0,1] neg_hi:[0,1]
	v_lshlrev_b32_e32 v138, 3, v2
	v_mov_b32_e32 v9, v5
	v_mov_b32_e32 v5, v11
	ds_write_b64 v138, v[4:5] offset:16
	v_pk_add_f32 v[4:5], v[6:7], v[22:23]
	v_pk_add_f32 v[28:29], v[0:1], v[6:7]
	v_pk_fma_f32 v[0:1], v[4:5], 0.5, v[0:1] op_sel_hi:[1,0,1] neg_lo:[1,0,0] neg_hi:[1,0,0]
	v_pk_add_f32 v[4:5], v[6:7], v[22:23] neg_lo:[0,1] neg_hi:[0,1]
	v_pk_add_f32 v[2:3], v[26:27], v[14:15]
	v_mov_b32_e32 v8, v10
	v_pk_mul_f32 v[4:5], v[4:5], s[6:7] op_sel_hi:[1,0]
	ds_write2_b64 v138, v[2:3], v[8:9] offset1:1
	v_mul_u32_u24_e32 v2, 3, v110
	v_pk_add_f32 v[6:7], v[0:1], v[4:5] op_sel:[0,1] op_sel_hi:[1,0]
	v_pk_add_f32 v[0:1], v[0:1], v[4:5] op_sel:[0,1] op_sel_hi:[1,0] neg_lo:[0,1] neg_hi:[0,1]
	v_lshlrev_b32_e32 v139, 3, v2
	v_pk_add_f32 v[2:3], v[28:29], v[22:23]
	v_mov_b32_e32 v4, v6
	v_mov_b32_e32 v5, v1
	;; [unrolled: 1-line block ×3, first 2 shown]
	v_mul_u32_u24_e32 v140, 3, v108
	ds_write2_b64 v139, v[2:3], v[4:5] offset1:1
	ds_write_b64 v139, v[0:1] offset:16
	s_and_saveexec_b64 s[6:7], s[4:5]
	s_cbranch_execz .LBB0_7
; %bb.6:
	v_pk_add_f32 v[0:1], v[16:17], v[18:19]
	v_lshlrev_b32_e32 v4, 3, v140
	v_pk_add_f32 v[0:1], v[0:1], v[20:21]
	v_mov_b32_e32 v2, v50
	v_mov_b32_e32 v3, v49
	ds_write2_b64 v4, v[0:1], v[2:3] offset1:1
	v_mov_b32_e32 v0, v48
	v_mov_b32_e32 v1, v51
	ds_write_b64 v4, v[0:1] offset:16
.LBB0_7:
	s_or_b64 exec, exec, s[6:7]
	s_movk_i32 s6, 0xab
	v_mul_lo_u16_sdwa v0, v86, s6 dst_sel:DWORD dst_unused:UNUSED_PAD src0_sel:BYTE_0 src1_sel:DWORD
	v_lshrrev_b16_e32 v36, 9, v0
	v_mul_lo_u16_e32 v0, 3, v36
	v_sub_u16_e32 v0, v86, v0
	v_and_b32_e32 v37, 0xff, v0
	s_movk_i32 s6, 0x48
	v_mov_b64_e32 v[0:1], s[0:1]
	v_mad_u64_u32 v[16:17], s[6:7], v37, s6, v[0:1]
	s_waitcnt lgkmcnt(0)
	s_barrier
	global_load_dwordx4 v[12:15], v[16:17], off
	global_load_dwordx4 v[8:11], v[16:17], off offset:16
	global_load_dwordx4 v[4:7], v[16:17], off offset:32
	global_load_dwordx4 v[0:3], v[16:17], off offset:48
	global_load_dwordx2 v[106:107], v[16:17], off offset:64
	v_add_u32_e32 v70, 0x800, v80
	v_add_u32_e32 v28, 0xc00, v80
	ds_read2_b64 v[16:19], v80 offset1:81
	ds_read2_b64 v[20:23], v80 offset0:162 offset1:243
	v_add_u32_e32 v71, 0x1000, v80
	ds_read2_b64 v[24:27], v70 offset0:68 offset1:149
	ds_read2_b64 v[28:31], v28 offset0:102 offset1:183
	;; [unrolled: 1-line block ×3, first 2 shown]
	v_mul_u32_u24_e32 v36, 30, v36
	v_add_lshl_u32 v81, v36, v37, 3
	s_mov_b32 s6, 0x3f737871
	s_mov_b32 s18, 0x3f167918
	;; [unrolled: 1-line block ×5, first 2 shown]
	s_waitcnt lgkmcnt(0)
	s_barrier
	s_waitcnt vmcnt(4)
	v_mov_b32_e32 v36, v15
	s_waitcnt vmcnt(3)
	v_mov_b32_e32 v38, v11
	;; [unrolled: 2-line block ×4, first 2 shown]
	v_pk_mul_f32 v[44:45], v[18:19], v[12:13] op_sel:[0,1]
	v_pk_mul_f32 v[46:47], v[22:23], v[8:9] op_sel:[0,1]
	;; [unrolled: 1-line block ×4, first 2 shown]
	s_waitcnt vmcnt(0)
	v_pk_mul_f32 v[56:57], v[34:35], v[106:107] op_sel:[0,1]
	v_pk_mul_f32 v[36:37], v[20:21], v[36:37] op_sel_hi:[1,0]
	v_pk_mul_f32 v[38:39], v[24:25], v[38:39] op_sel_hi:[1,0]
	;; [unrolled: 1-line block ×4, first 2 shown]
	v_pk_fma_f32 v[58:59], v[18:19], v[12:13], v[44:45] op_sel:[0,0,1] op_sel_hi:[1,1,0] neg_lo:[0,0,1] neg_hi:[0,0,1]
	v_pk_fma_f32 v[18:19], v[18:19], v[12:13], v[44:45] op_sel:[0,0,1] op_sel_hi:[1,0,0]
	v_pk_fma_f32 v[44:45], v[22:23], v[8:9], v[46:47] op_sel:[0,0,1] op_sel_hi:[1,1,0] neg_lo:[0,0,1] neg_hi:[0,0,1]
	v_pk_fma_f32 v[22:23], v[22:23], v[8:9], v[46:47] op_sel:[0,0,1] op_sel_hi:[1,0,0]
	;; [unrolled: 2-line block ×9, first 2 shown]
	v_mov_b32_e32 v45, v23
	v_mov_b32_e32 v47, v27
	;; [unrolled: 1-line block ×8, first 2 shown]
	v_pk_add_f32 v[26:27], v[44:45], v[46:47] neg_lo:[0,1] neg_hi:[0,1]
	v_pk_add_f32 v[28:29], v[54:55], v[60:61] neg_lo:[0,1] neg_hi:[0,1]
	v_pk_add_f32 v[30:31], v[36:37], v[38:39]
	v_pk_add_f32 v[32:33], v[56:57], v[40:41] neg_lo:[0,1] neg_hi:[0,1]
	v_pk_add_f32 v[42:43], v[56:57], v[36:37] neg_lo:[0,1] neg_hi:[0,1]
	;; [unrolled: 1-line block ×3, first 2 shown]
	v_pk_add_f32 v[26:27], v[26:27], v[28:29]
	v_pk_fma_f32 v[28:29], v[30:31], 0.5, v[16:17] op_sel_hi:[1,0,1] neg_lo:[1,0,0] neg_hi:[1,0,0]
	v_pk_add_f32 v[34:35], v[36:37], v[38:39] neg_lo:[0,1] neg_hi:[0,1]
	v_pk_add_f32 v[30:31], v[42:43], v[52:53]
	v_pk_fma_f32 v[42:43], v[32:33], s[6:7], v[28:29] op_sel:[1,0,0] op_sel_hi:[0,0,1] neg_lo:[1,0,0] neg_hi:[1,0,0]
	v_pk_fma_f32 v[28:29], v[32:33], s[6:7], v[28:29] op_sel:[1,0,0] op_sel_hi:[0,0,1]
	v_mov_b32_e32 v59, v19
	v_pk_add_f32 v[20:21], v[46:47], v[60:61]
	v_pk_fma_f32 v[28:29], v[34:35], s[18:19], v[28:29] op_sel:[1,0,0] op_sel_hi:[0,0,1]
	v_pk_fma_f32 v[42:43], v[34:35], s[18:19], v[42:43] op_sel:[1,0,0] op_sel_hi:[0,0,1] neg_lo:[1,0,0] neg_hi:[1,0,0]
	v_pk_add_f32 v[22:23], v[44:45], v[54:55] neg_lo:[0,1] neg_hi:[0,1]
	v_pk_fma_f32 v[20:21], v[20:21], 0.5, v[58:59] op_sel_hi:[1,0,1] neg_lo:[1,0,0] neg_hi:[1,0,0]
	v_mov_b32_e32 v52, v42
	v_mov_b32_e32 v53, v29
	v_pk_add_f32 v[24:25], v[46:47], v[60:61] neg_lo:[0,1] neg_hi:[0,1]
	v_pk_fma_f32 v[62:63], v[30:31], s[16:17], v[52:53] op_sel_hi:[1,0,1]
	v_pk_fma_f32 v[52:53], v[22:23], s[6:7], v[20:21] op_sel:[0,0,1] op_sel_hi:[1,0,0]
	v_pk_fma_f32 v[20:21], v[22:23], s[6:7], v[20:21] op_sel:[0,0,1] op_sel_hi:[1,0,0] neg_lo:[1,0,0] neg_hi:[1,0,0]
	v_pk_fma_f32 v[64:65], v[24:25], s[18:19], v[52:53] op_sel_hi:[1,0,1]
	v_pk_fma_f32 v[20:21], v[24:25], s[18:19], v[20:21] op_sel_hi:[1,0,1] neg_lo:[1,0,0] neg_hi:[1,0,0]
	v_pk_mul_f32 v[26:27], v[26:27], s[16:17] op_sel_hi:[1,0]
	v_mov_b32_e32 v52, v64
	v_mov_b32_e32 v53, v21
	v_pk_add_f32 v[52:53], v[26:27], v[52:53] op_sel:[1,0] op_sel_hi:[0,1]
	v_pk_mul_f32 v[66:67], v[52:53], s[20:21] op_sel_hi:[1,0]
	v_mov_b32_e32 v21, v65
	v_pk_add_f32 v[18:19], v[58:59], v[44:45]
	v_pk_fma_f32 v[66:67], v[52:53], s[18:19], v[66:67] op_sel:[0,0,1] op_sel_hi:[1,1,0] neg_lo:[0,0,1] neg_hi:[0,0,1]
	v_pk_add_f32 v[52:53], v[16:17], v[56:57]
	v_pk_add_f32 v[20:21], v[26:27], v[20:21] op_sel:[1,0] op_sel_hi:[0,1]
	v_pk_add_f32 v[18:19], v[18:19], v[46:47]
	v_pk_add_f32 v[52:53], v[52:53], v[36:37]
	v_mov_b32_e32 v29, v43
	v_pk_mul_f32 v[26:27], v[20:21], s[18:19] op_sel_hi:[1,0]
	v_pk_add_f32 v[18:19], v[18:19], v[60:61]
	v_pk_add_f32 v[52:53], v[52:53], v[38:39]
	v_pk_fma_f32 v[28:29], v[30:31], s[16:17], v[28:29] op_sel_hi:[1,0,1]
	v_pk_fma_f32 v[30:31], v[20:21], s[20:21], v[26:27] op_sel:[0,0,1] op_sel_hi:[1,0,0]
	v_pk_fma_f32 v[20:21], v[20:21], s[20:21], v[26:27] op_sel:[0,0,1] op_sel_hi:[1,0,0] neg_lo:[0,0,1] neg_hi:[0,0,1]
	v_pk_add_f32 v[18:19], v[18:19], v[54:55]
	v_pk_add_f32 v[68:69], v[52:53], v[40:41]
	v_mov_b32_e32 v26, v31
	v_mov_b32_e32 v27, v20
	v_pk_add_f32 v[42:43], v[68:69], v[18:19]
	v_pk_add_f32 v[20:21], v[28:29], v[26:27]
	ds_write2_b64 v81, v[42:43], v[20:21] offset1:3
	v_pk_add_f32 v[20:21], v[56:57], v[40:41]
	v_pk_add_f32 v[30:31], v[38:39], v[40:41] neg_lo:[0,1] neg_hi:[0,1]
	v_pk_fma_f32 v[16:17], v[20:21], 0.5, v[16:17] op_sel_hi:[1,0,1] neg_lo:[1,0,0] neg_hi:[1,0,0]
	v_pk_add_f32 v[20:21], v[36:37], v[56:57] neg_lo:[0,1] neg_hi:[0,1]
	v_pk_add_f32 v[36:37], v[46:47], v[44:45] neg_lo:[0,1] neg_hi:[0,1]
	v_pk_add_f32 v[20:21], v[20:21], v[30:31]
	v_pk_fma_f32 v[30:31], v[34:35], s[6:7], v[16:17] op_sel:[1,0,0] op_sel_hi:[0,0,1] neg_lo:[1,0,0] neg_hi:[1,0,0]
	v_pk_fma_f32 v[16:17], v[34:35], s[6:7], v[16:17] op_sel:[1,0,0] op_sel_hi:[0,0,1]
	v_pk_add_f32 v[34:35], v[44:45], v[54:55]
	v_pk_add_f32 v[38:39], v[60:61], v[54:55] neg_lo:[0,1] neg_hi:[0,1]
	v_pk_fma_f32 v[34:35], v[34:35], 0.5, v[58:59] op_sel_hi:[1,0,1] neg_lo:[1,0,0] neg_hi:[1,0,0]
	v_pk_mul_f32 v[24:25], v[24:25], s[6:7] op_sel_hi:[1,0]
	v_pk_add_f32 v[36:37], v[36:37], v[38:39]
	v_pk_mul_f32 v[22:23], v[22:23], s[18:19] op_sel_hi:[1,0]
	v_pk_add_f32 v[38:39], v[34:35], v[24:25] op_sel:[0,1] op_sel_hi:[1,0] neg_lo:[0,1] neg_hi:[0,1]
	v_pk_add_f32 v[24:25], v[34:35], v[24:25] op_sel:[0,1] op_sel_hi:[1,0]
	v_pk_fma_f32 v[16:17], v[32:33], s[18:19], v[16:17] op_sel:[1,0,0] op_sel_hi:[0,0,1] neg_lo:[1,0,0] neg_hi:[1,0,0]
	v_pk_add_f32 v[24:25], v[24:25], v[22:23] op_sel:[0,1] op_sel_hi:[1,0] neg_lo:[0,1] neg_hi:[0,1]
	v_pk_add_f32 v[22:23], v[38:39], v[22:23] op_sel:[0,1] op_sel_hi:[1,0]
	v_pk_fma_f32 v[30:31], v[32:33], s[18:19], v[30:31] op_sel:[1,0,0] op_sel_hi:[0,0,1]
	v_mov_b32_e32 v34, v22
	v_mov_b32_e32 v35, v25
	;; [unrolled: 1-line block ×4, first 2 shown]
	v_pk_fma_f32 v[34:35], v[36:37], s[16:17], v[34:35] op_sel_hi:[1,0,1]
	v_mov_b32_e32 v17, v31
	v_mov_b32_e32 v25, v23
	v_pk_fma_f32 v[32:33], v[20:21], s[16:17], v[32:33] op_sel_hi:[1,0,1]
	v_pk_mul_f32 v[38:39], v[34:35], s[6:7] op_sel_hi:[1,0]
	v_pk_fma_f32 v[16:17], v[20:21], s[16:17], v[16:17] op_sel_hi:[1,0,1]
	v_pk_fma_f32 v[20:21], v[36:37], s[16:17], v[24:25] op_sel_hi:[1,0,1]
	v_pk_fma_f32 v[40:41], v[34:35], s[16:17], v[38:39] op_sel:[0,0,1] op_sel_hi:[1,0,0]
	v_pk_fma_f32 v[34:35], v[34:35], s[16:17], v[38:39] op_sel:[0,0,1] op_sel_hi:[1,0,0] neg_lo:[0,0,1] neg_hi:[0,0,1]
	s_mov_b32 s18, 0xbf737871
	s_mov_b32 s19, s6
	v_pk_mul_f32 v[22:23], v[20:21], s[16:17] op_sel_hi:[1,0]
	v_mov_b32_e32 v41, v35
	v_pk_fma_f32 v[20:21], v[20:21], s[18:19], v[22:23] op_sel:[0,0,1] op_sel_hi:[1,1,0] neg_lo:[0,0,1] neg_hi:[0,0,1]
	v_pk_add_f32 v[34:35], v[32:33], v[40:41]
	v_pk_add_f32 v[22:23], v[16:17], v[20:21] op_sel:[0,1] op_sel_hi:[1,0]
	v_pk_add_f32 v[52:53], v[62:63], v[66:67] neg_lo:[0,1] neg_hi:[0,1]
	ds_write2_b64 v81, v[34:35], v[22:23] offset0:6 offset1:9
	v_pk_add_f32 v[22:23], v[62:63], v[66:67]
	v_pk_add_f32 v[18:19], v[68:69], v[18:19] neg_lo:[0,1] neg_hi:[0,1]
	v_pk_add_f32 v[16:17], v[16:17], v[20:21] op_sel:[0,1] op_sel_hi:[1,0] neg_lo:[0,1] neg_hi:[0,1]
	ds_write2_b64 v81, v[22:23], v[18:19] offset0:12 offset1:15
	v_pk_add_f32 v[18:19], v[28:29], v[26:27] neg_lo:[0,1] neg_hi:[0,1]
	v_pk_add_f32 v[22:23], v[32:33], v[40:41] neg_lo:[0,1] neg_hi:[0,1]
	ds_write2_b64 v81, v[16:17], v[52:53] offset0:24 offset1:27
	v_add_u32_e32 v16, 0x400, v80
	ds_write2_b64 v81, v[18:19], v[22:23] offset0:18 offset1:21
	s_waitcnt lgkmcnt(0)
	s_barrier
	ds_read2_b64 v[40:43], v80 offset1:81
	ds_read2_b64 v[32:35], v16 offset0:34 offset1:142
	ds_read2_b64 v[44:47], v71 offset0:28 offset1:109
	;; [unrolled: 1-line block ×3, first 2 shown]
	ds_read_b64 v[54:55], v80 offset:5616
	s_and_saveexec_b64 s[6:7], s[2:3]
	s_xor_b64 s[6:7], exec, s[6:7]
	s_andn2_saveexec_b64 s[6:7], s[6:7]
	s_cbranch_execz .LBB0_9
; %bb.8:
	ds_read_b64 v[16:17], v80 offset:4104
	ds_read_b64 v[48:49], v80 offset:6264
	ds_read_b64 v[52:53], v80 offset:1944
	s_waitcnt lgkmcnt(2)
	v_mov_b32_e32 v50, v16
	s_waitcnt lgkmcnt(1)
	v_mov_b32_e32 v51, v49
	v_mov_b32_e32 v49, v17
.LBB0_9:
	s_or_b64 exec, exec, s[6:7]
	s_movk_i32 s6, 0x89
	v_mul_lo_u16_sdwa v16, v86, s6 dst_sel:DWORD dst_unused:UNUSED_PAD src0_sel:BYTE_0 src1_sel:DWORD
	v_lshrrev_b16_e32 v56, 12, v16
	v_mul_lo_u16_e32 v16, 30, v56
	v_sub_u16_e32 v16, v86, v16
	v_and_b32_e32 v57, 0xff, v16
	v_mul_lo_u16_sdwa v16, v112, s6 dst_sel:DWORD dst_unused:UNUSED_PAD src0_sel:BYTE_0 src1_sel:DWORD
	v_lshrrev_b16_e32 v58, 12, v16
	v_mul_lo_u16_e32 v16, 30, v58
	s_mov_b32 s7, 0x8889
	v_sub_u16_e32 v21, v112, v16
	v_mul_u32_u24_sdwa v16, v108, s7 dst_sel:DWORD dst_unused:UNUSED_PAD src0_sel:WORD_0 src1_sel:DWORD
	v_lshrrev_b32_e32 v16, 20, v16
	v_mul_lo_u16_e32 v16, 30, v16
	v_sub_u16_e32 v70, v108, v16
	v_lshlrev_b16_e32 v16, 4, v70
	v_mov_b32_e32 v17, 0
	v_lshlrev_b32_e32 v20, 4, v57
	v_lshl_add_u64 v[16:17], s[0:1], 0, v[16:17]
	global_load_dwordx4 v[16:19], v[16:17], off offset:216
	v_and_b32_e32 v59, 0xff, v21
	global_load_dwordx4 v[20:23], v20, s[0:1] offset:216
	v_lshlrev_b32_e32 v24, 4, v59
	global_load_dwordx4 v[24:27], v24, s[0:1] offset:216
	v_mul_lo_u16_sdwa v28, v110, s6 dst_sel:DWORD dst_unused:UNUSED_PAD src0_sel:BYTE_0 src1_sel:DWORD
	v_lshrrev_b16_e32 v71, 12, v28
	v_mul_lo_u16_e32 v28, 30, v71
	v_sub_u16_e32 v28, v110, v28
	v_and_b32_e32 v72, 0xff, v28
	v_lshlrev_b32_e32 v28, 4, v72
	global_load_dwordx4 v[28:31], v28, s[0:1] offset:216
	v_mul_u32_u24_e32 v56, 0x5a, v56
	v_mul_u32_u24_e32 v58, 0x5a, v58
	v_add_lshl_u32 v142, v56, v57, 3
	v_add_lshl_u32 v141, v58, v59, 3
	s_mov_b32 s6, 0x3f5db3d7
	s_waitcnt lgkmcnt(0)
	s_barrier
	v_lshlrev_b32_e32 v144, 3, v70
	s_waitcnt vmcnt(3)
	v_pk_mul_f32 v[56:57], v[50:51], v[16:17] op_sel_hi:[0,1]
	v_pk_mul_f32 v[58:59], v[48:49], v[18:19] op_sel_hi:[0,1]
	s_waitcnt vmcnt(2)
	v_pk_mul_f32 v[60:61], v[34:35], v[20:21] op_sel:[0,1]
	v_mov_b32_e32 v62, v23
	v_pk_fma_f32 v[68:69], v[48:49], v[16:17], v[56:57] op_sel:[1,0,1] op_sel_hi:[1,1,0]
	v_pk_fma_f32 v[48:49], v[48:49], v[16:17], v[56:57] op_sel:[1,0,1] op_sel_hi:[1,1,0] neg_lo:[1,0,0] neg_hi:[1,0,0]
	v_pk_fma_f32 v[56:57], v[50:51], v[18:19], v[58:59] op_sel:[1,0,1] op_sel_hi:[1,1,0]
	v_pk_fma_f32 v[50:51], v[50:51], v[18:19], v[58:59] op_sel:[1,0,1] op_sel_hi:[1,1,0] neg_lo:[1,0,0] neg_hi:[1,0,0]
	v_pk_fma_f32 v[58:59], v[34:35], v[20:21], v[60:61] op_sel:[0,0,1] op_sel_hi:[1,1,0] neg_lo:[0,0,1] neg_hi:[0,0,1]
	v_pk_fma_f32 v[34:35], v[34:35], v[20:21], v[60:61] op_sel:[0,0,1] op_sel_hi:[1,0,0]
	v_pk_mul_f32 v[60:61], v[44:45], v[62:63] op_sel_hi:[1,0]
	s_waitcnt vmcnt(1)
	v_pk_mul_f32 v[64:65], v[36:37], v[24:25] op_sel:[0,1]
	v_mov_b32_e32 v66, v27
	v_mov_b32_e32 v69, v49
	;; [unrolled: 1-line block ×8, first 2 shown]
	v_pk_fma_f32 v[34:35], v[44:45], v[22:23], v[60:61] op_sel:[0,0,1] op_sel_hi:[1,1,0] neg_lo:[0,0,1] neg_hi:[0,0,1]
	v_pk_fma_f32 v[44:45], v[44:45], v[22:23], v[60:61] op_sel:[0,0,1] op_sel_hi:[1,0,0]
	v_pk_fma_f32 v[62:63], v[36:37], v[24:25], v[64:65] op_sel:[0,0,1] op_sel_hi:[1,1,0] neg_lo:[0,0,1] neg_hi:[0,0,1]
	v_pk_fma_f32 v[36:37], v[36:37], v[24:25], v[64:65] op_sel:[0,0,1] op_sel_hi:[1,0,0]
	v_pk_mul_f32 v[64:65], v[46:47], v[66:67] op_sel_hi:[1,0]
	v_pk_add_f32 v[60:61], v[48:49], v[50:51]
	v_pk_add_f32 v[48:49], v[52:53], v[48:49]
	v_mov_b32_e32 v35, v45
	v_pk_add_f32 v[44:45], v[40:41], v[58:59]
	v_mov_b32_e32 v63, v37
	v_pk_fma_f32 v[36:37], v[46:47], v[26:27], v[64:65] op_sel:[0,0,1] op_sel_hi:[1,1,0] neg_lo:[0,0,1] neg_hi:[0,0,1]
	v_pk_fma_f32 v[46:47], v[46:47], v[26:27], v[64:65] op_sel:[0,0,1] op_sel_hi:[1,0,0]
	v_pk_add_f32 v[64:65], v[48:49], v[50:51]
	v_pk_add_f32 v[44:45], v[44:45], v[34:35]
	;; [unrolled: 1-line block ×3, first 2 shown]
	v_pk_add_f32 v[34:35], v[58:59], v[34:35] neg_lo:[0,1] neg_hi:[0,1]
	v_mov_b32_e32 v37, v47
	v_pk_add_f32 v[46:47], v[42:43], v[62:63]
	v_pk_fma_f32 v[40:41], v[48:49], 0.5, v[40:41] op_sel_hi:[1,0,1] neg_lo:[1,0,0] neg_hi:[1,0,0]
	v_pk_mul_f32 v[34:35], v[34:35], s[6:7] op_sel_hi:[1,0]
	v_pk_add_f32 v[46:47], v[46:47], v[36:37]
	v_pk_add_f32 v[50:51], v[62:63], v[36:37]
	v_pk_add_f32 v[36:37], v[62:63], v[36:37] neg_lo:[0,1] neg_hi:[0,1]
	v_pk_add_f32 v[48:49], v[40:41], v[34:35] op_sel:[0,1] op_sel_hi:[1,0]
	v_pk_add_f32 v[34:35], v[40:41], v[34:35] op_sel:[0,1] op_sel_hi:[1,0] neg_lo:[0,1] neg_hi:[0,1]
	v_pk_fma_f32 v[42:43], v[50:51], 0.5, v[42:43] op_sel_hi:[1,0,1] neg_lo:[1,0,0] neg_hi:[1,0,0]
	v_pk_mul_f32 v[36:37], v[36:37], s[6:7] op_sel_hi:[1,0]
	v_mov_b32_e32 v50, v48
	v_mov_b32_e32 v51, v35
	;; [unrolled: 1-line block ×3, first 2 shown]
	v_pk_add_f32 v[40:41], v[42:43], v[36:37] op_sel:[0,1] op_sel_hi:[1,0]
	ds_write2_b64 v142, v[44:45], v[50:51] offset1:30
	ds_write_b64 v142, v[34:35] offset:480
	v_pk_add_f32 v[34:35], v[42:43], v[36:37] op_sel:[0,1] op_sel_hi:[1,0] neg_lo:[0,1] neg_hi:[0,1]
	v_mov_b32_e32 v36, v40
	v_mov_b32_e32 v37, v35
	;; [unrolled: 1-line block ×3, first 2 shown]
	ds_write_b64 v141, v[34:35] offset:480
	v_mul_u32_u24_e32 v34, 0x5a, v71
	v_add_lshl_u32 v143, v34, v72, 3
	s_waitcnt vmcnt(0)
	v_pk_mul_f32 v[34:35], v[38:39], v[28:29] op_sel:[0,1]
	ds_write2_b64 v141, v[46:47], v[36:37] offset1:30
	v_pk_fma_f32 v[36:37], v[38:39], v[28:29], v[34:35] op_sel:[0,0,1] op_sel_hi:[1,1,0] neg_lo:[0,0,1] neg_hi:[0,0,1]
	v_pk_fma_f32 v[34:35], v[38:39], v[28:29], v[34:35] op_sel:[0,0,1] op_sel_hi:[1,0,0]
	v_pk_add_f32 v[56:57], v[68:69], v[56:57] neg_lo:[0,1] neg_hi:[0,1]
	v_mov_b32_e32 v34, v31
	v_mov_b32_e32 v37, v35
	v_pk_mul_f32 v[34:35], v[54:55], v[34:35] op_sel_hi:[1,0]
	v_pk_fma_f32 v[52:53], v[60:61], 0.5, v[52:53] op_sel_hi:[1,0,1] neg_lo:[1,0,0] neg_hi:[1,0,0]
	v_pk_fma_f32 v[38:39], v[54:55], v[30:31], v[34:35] op_sel:[0,0,1] op_sel_hi:[1,1,0] neg_lo:[0,0,1] neg_hi:[0,0,1]
	v_pk_fma_f32 v[34:35], v[54:55], v[30:31], v[34:35] op_sel:[0,0,1] op_sel_hi:[1,0,0]
	v_pk_fma_f32 v[66:67], v[56:57], s[6:7], v[52:53] op_sel_hi:[1,0,1] neg_lo:[1,0,0] neg_hi:[1,0,0]
	v_mov_b32_e32 v39, v35
	v_pk_add_f32 v[34:35], v[32:33], v[36:37]
	v_pk_add_f32 v[40:41], v[36:37], v[38:39]
	v_pk_add_f32 v[36:37], v[36:37], v[38:39] neg_lo:[0,1] neg_hi:[0,1]
	v_pk_fma_f32 v[32:33], v[40:41], 0.5, v[32:33] op_sel_hi:[1,0,1] neg_lo:[1,0,0] neg_hi:[1,0,0]
	v_pk_mul_f32 v[36:37], v[36:37], s[6:7] op_sel_hi:[1,0]
	v_pk_add_f32 v[34:35], v[34:35], v[38:39]
	v_pk_add_f32 v[38:39], v[32:33], v[36:37] op_sel:[0,1] op_sel_hi:[1,0]
	v_pk_add_f32 v[32:33], v[32:33], v[36:37] op_sel:[0,1] op_sel_hi:[1,0] neg_lo:[0,1] neg_hi:[0,1]
	v_pk_fma_f32 v[68:69], v[56:57], s[6:7], v[52:53] op_sel_hi:[1,0,1]
	v_mov_b32_e32 v36, v38
	v_mov_b32_e32 v37, v33
	;; [unrolled: 1-line block ×3, first 2 shown]
	ds_write2_b64 v143, v[34:35], v[36:37] offset1:30
	ds_write_b64 v143, v[32:33] offset:480
	s_and_saveexec_b64 s[6:7], s[4:5]
	s_cbranch_execz .LBB0_11
; %bb.10:
	v_mov_b32_e32 v32, v68
	v_mov_b32_e32 v33, v67
	v_add_u32_e32 v34, 0x1000, v144
	ds_write2_b64 v34, v[64:65], v[32:33] offset0:208 offset1:238
	v_mov_b32_e32 v32, v66
	v_mov_b32_e32 v33, v69
	ds_write_b64 v144, v[32:33] offset:6240
.LBB0_11:
	s_or_b64 exec, exec, s[6:7]
	v_add_u32_e32 v32, 0x400, v80
	s_waitcnt lgkmcnt(0)
	s_barrier
	ds_read2_b64 v[40:43], v32 offset0:34 offset1:142
	v_add_u32_e32 v32, 0x1000, v80
	ds_read2_b64 v[60:63], v32 offset0:28 offset1:109
	v_add_u32_e32 v32, 0x800, v80
	ds_read2_b64 v[56:59], v80 offset1:81
	ds_read2_b64 v[52:55], v32 offset0:95 offset1:176
	ds_read_b64 v[70:71], v80 offset:5616
	s_and_saveexec_b64 s[6:7], s[2:3]
	s_xor_b64 s[6:7], exec, s[6:7]
	s_andn2_saveexec_b64 s[6:7], s[6:7]
	s_cbranch_execz .LBB0_13
; %bb.12:
	ds_read_b64 v[32:33], v80 offset:4104
	ds_read_b64 v[66:67], v80 offset:6264
	;; [unrolled: 1-line block ×3, first 2 shown]
	s_waitcnt lgkmcnt(2)
	v_mov_b32_e32 v68, v32
	s_waitcnt lgkmcnt(1)
	v_mov_b32_e32 v69, v67
	v_mov_b32_e32 v67, v33
.LBB0_13:
	s_or_b64 exec, exec, s[6:7]
	v_lshlrev_b32_e32 v116, 4, v86
	s_movk_i32 s6, 0x2d83
	global_load_dwordx4 v[32:35], v116, s[0:1] offset:696
	v_lshl_add_u64 v[36:37], v[86:87], 0, -9
	v_cmp_gt_u16_e32 vcc, 9, v86
	v_mul_u32_u24_sdwa v44, v108, s6 dst_sel:DWORD dst_unused:UNUSED_PAD src0_sel:WORD_0 src1_sel:DWORD
	v_lshrrev_b32_e32 v44, 20, v44
	v_cndmask_b32_e32 v73, v37, v113, vcc
	v_cndmask_b32_e32 v72, v36, v112, vcc
	v_lshl_add_u64 v[36:37], v[72:73], 4, s[0:1]
	v_mul_lo_u16_e32 v44, 0x5a, v44
	global_load_dwordx4 v[36:39], v[36:37], off offset:696
	v_mov_b32_e32 v117, 0
	v_sub_u16_e32 v111, v108, v44
	v_mov_b32_e32 v45, v117
	v_lshlrev_b16_e32 v44, 4, v111
	v_lshl_add_u64 v[44:45], s[0:1], 0, v[44:45]
	global_load_dwordx4 v[44:47], v[44:45], off offset:696
	s_movk_i32 s6, 0xb7
	v_mul_lo_u16_sdwa v48, v110, s6 dst_sel:DWORD dst_unused:UNUSED_PAD src0_sel:BYTE_0 src1_sel:DWORD
	v_lshrrev_b16_e32 v113, 14, v48
	v_mul_lo_u16_e32 v48, 0x5a, v113
	v_sub_u16_e32 v48, v110, v48
	v_and_b32_e32 v122, 0xff, v48
	v_lshlrev_b32_e32 v48, 4, v122
	global_load_dwordx4 v[48:51], v48, s[0:1] offset:696
	v_mov_b32_e32 v73, 0x10e
	v_cmp_lt_u16_e32 vcc, 8, v86
	s_mov_b32 s6, 0x3f5db3d7
	s_waitcnt lgkmcnt(0)
	v_cndmask_b32_e32 v73, 0, v73, vcc
	v_add_lshl_u32 v145, v72, v73, 3
	s_barrier
	v_lshlrev_b32_e32 v147, 3, v111
	s_waitcnt vmcnt(3)
	v_pk_mul_f32 v[72:73], v[42:43], v[32:33] op_sel:[0,1]
	v_mov_b32_e32 v74, v35
	v_pk_fma_f32 v[76:77], v[42:43], v[32:33], v[72:73] op_sel:[0,0,1] op_sel_hi:[1,1,0] neg_lo:[0,0,1] neg_hi:[0,0,1]
	v_pk_fma_f32 v[42:43], v[42:43], v[32:33], v[72:73] op_sel:[0,0,1] op_sel_hi:[1,0,0]
	v_pk_mul_f32 v[72:73], v[60:61], v[74:75] op_sel_hi:[1,0]
	v_mov_b32_e32 v77, v43
	v_pk_fma_f32 v[42:43], v[60:61], v[34:35], v[72:73] op_sel:[0,0,1] op_sel_hi:[1,1,0] neg_lo:[0,0,1] neg_hi:[0,0,1]
	v_pk_fma_f32 v[60:61], v[60:61], v[34:35], v[72:73] op_sel:[0,0,1] op_sel_hi:[1,0,0]
	v_pk_add_f32 v[74:75], v[56:57], v[76:77]
	s_waitcnt vmcnt(2)
	v_pk_mul_f32 v[72:73], v[52:53], v[36:37] op_sel:[0,1]
	v_mov_b32_e32 v60, v39
	v_mov_b32_e32 v43, v61
	v_pk_fma_f32 v[78:79], v[52:53], v[36:37], v[72:73] op_sel:[0,0,1] op_sel_hi:[1,1,0] neg_lo:[0,0,1] neg_hi:[0,0,1]
	v_pk_fma_f32 v[52:53], v[52:53], v[36:37], v[72:73] op_sel:[0,0,1] op_sel_hi:[1,0,0]
	v_pk_mul_f32 v[60:61], v[62:63], v[60:61] op_sel_hi:[1,0]
	v_pk_add_f32 v[72:73], v[76:77], v[42:43]
	v_pk_add_f32 v[76:77], v[76:77], v[42:43] neg_lo:[0,1] neg_hi:[0,1]
	v_mov_b32_e32 v79, v53
	v_pk_fma_f32 v[52:53], v[62:63], v[38:39], v[60:61] op_sel:[0,0,1] op_sel_hi:[1,1,0] neg_lo:[0,0,1] neg_hi:[0,0,1]
	v_pk_fma_f32 v[60:61], v[62:63], v[38:39], v[60:61] op_sel:[0,0,1] op_sel_hi:[1,0,0]
	v_pk_add_f32 v[42:43], v[74:75], v[42:43]
	v_pk_fma_f32 v[56:57], v[72:73], 0.5, v[56:57] op_sel_hi:[1,0,1] neg_lo:[1,0,0] neg_hi:[1,0,0]
	v_pk_mul_f32 v[62:63], v[76:77], s[6:7] op_sel_hi:[1,0]
	v_mov_b32_e32 v53, v61
	v_pk_add_f32 v[60:61], v[58:59], v[78:79]
	s_waitcnt vmcnt(1)
	v_pk_mul_f32 v[72:73], v[66:67], v[44:45] op_sel:[1,0]
	v_pk_mul_f32 v[74:75], v[68:69], v[46:47] op_sel:[1,0]
	v_pk_add_f32 v[76:77], v[56:57], v[62:63] op_sel:[0,1] op_sel_hi:[1,0] neg_lo:[0,1] neg_hi:[0,1]
	v_pk_add_f32 v[56:57], v[56:57], v[62:63] op_sel:[0,1] op_sel_hi:[1,0]
	v_pk_add_f32 v[60:61], v[60:61], v[52:53]
	v_pk_add_f32 v[62:63], v[78:79], v[52:53]
	v_pk_add_f32 v[52:53], v[78:79], v[52:53] neg_lo:[0,1] neg_hi:[0,1]
	v_pk_fma_f32 v[78:79], v[68:69], v[44:45], v[72:73] op_sel:[0,0,1] op_sel_hi:[1,1,0] neg_lo:[0,0,1] neg_hi:[0,0,1]
	v_pk_fma_f32 v[68:69], v[68:69], v[44:45], v[72:73] op_sel:[0,0,1] op_sel_hi:[0,1,0]
	v_pk_fma_f32 v[72:73], v[66:67], v[46:47], v[74:75] op_sel:[0,0,1] op_sel_hi:[1,1,0] neg_lo:[0,0,1] neg_hi:[0,0,1]
	v_pk_fma_f32 v[66:67], v[66:67], v[46:47], v[74:75] op_sel:[0,0,1] op_sel_hi:[0,1,0]
	v_mov_b32_e32 v74, v56
	v_mov_b32_e32 v75, v77
	v_mov_b32_e32 v77, v57
	v_pk_fma_f32 v[56:57], v[62:63], 0.5, v[58:59] op_sel_hi:[1,0,1] neg_lo:[1,0,0] neg_hi:[1,0,0]
	v_pk_mul_f32 v[52:53], v[52:53], s[6:7] op_sel_hi:[1,0]
	v_mov_b32_e32 v79, v69
	v_mov_b32_e32 v73, v67
	ds_write2_b64 v80, v[42:43], v[74:75] offset1:90
	ds_write_b64 v80, v[76:77] offset:1440
	v_pk_add_f32 v[42:43], v[56:57], v[52:53] op_sel:[0,1] op_sel_hi:[1,0]
	v_pk_add_f32 v[52:53], v[56:57], v[52:53] op_sel:[0,1] op_sel_hi:[1,0] neg_lo:[0,1] neg_hi:[0,1]
	v_pk_add_f32 v[56:57], v[64:65], v[78:79]
	v_pk_add_f32 v[58:59], v[78:79], v[72:73]
	v_pk_add_f32 v[62:63], v[78:79], v[72:73] neg_lo:[0,1] neg_hi:[0,1]
	v_mov_b32_e32 v66, v42
	v_mov_b32_e32 v67, v53
	;; [unrolled: 1-line block ×3, first 2 shown]
	v_pk_add_f32 v[114:115], v[56:57], v[72:73]
	v_pk_fma_f32 v[42:43], v[58:59], 0.5, v[64:65] op_sel_hi:[1,0,1] neg_lo:[1,0,0] neg_hi:[1,0,0]
	v_pk_mul_f32 v[56:57], v[62:63], s[6:7] op_sel_hi:[1,0]
	ds_write_b64 v145, v[52:53] offset:1440
	v_pk_add_f32 v[118:119], v[42:43], v[56:57] op_sel:[0,1] op_sel_hi:[1,0] neg_lo:[0,1] neg_hi:[0,1]
	v_pk_add_f32 v[120:121], v[56:57], v[42:43] op_sel:[1,0] op_sel_hi:[0,1]
	v_mul_u32_u24_e32 v42, 0x10e, v113
	v_add_lshl_u32 v146, v42, v122, 3
	s_waitcnt vmcnt(0)
	v_pk_mul_f32 v[42:43], v[54:55], v[48:49] op_sel:[0,1]
	ds_write2_b64 v145, v[60:61], v[66:67] offset1:90
	v_pk_fma_f32 v[52:53], v[54:55], v[48:49], v[42:43] op_sel:[0,0,1] op_sel_hi:[1,1,0] neg_lo:[0,0,1] neg_hi:[0,0,1]
	v_pk_fma_f32 v[42:43], v[54:55], v[48:49], v[42:43] op_sel:[0,0,1] op_sel_hi:[1,0,0]
	s_nop 0
	v_mov_b32_e32 v42, v51
	v_mov_b32_e32 v53, v43
	v_pk_mul_f32 v[42:43], v[70:71], v[42:43] op_sel_hi:[1,0]
	s_nop 0
	v_pk_fma_f32 v[54:55], v[70:71], v[50:51], v[42:43] op_sel:[0,0,1] op_sel_hi:[1,1,0] neg_lo:[0,0,1] neg_hi:[0,0,1]
	v_pk_fma_f32 v[42:43], v[70:71], v[50:51], v[42:43] op_sel:[0,0,1] op_sel_hi:[1,0,0]
	s_nop 0
	v_mov_b32_e32 v55, v43
	v_pk_add_f32 v[42:43], v[40:41], v[52:53]
	v_pk_add_f32 v[56:57], v[52:53], v[54:55]
	v_pk_add_f32 v[52:53], v[52:53], v[54:55] neg_lo:[0,1] neg_hi:[0,1]
	v_pk_fma_f32 v[40:41], v[56:57], 0.5, v[40:41] op_sel_hi:[1,0,1] neg_lo:[1,0,0] neg_hi:[1,0,0]
	v_pk_mul_f32 v[52:53], v[52:53], s[6:7] op_sel_hi:[1,0]
	v_pk_add_f32 v[42:43], v[42:43], v[54:55]
	v_pk_add_f32 v[54:55], v[40:41], v[52:53] op_sel:[0,1] op_sel_hi:[1,0]
	v_pk_add_f32 v[40:41], v[40:41], v[52:53] op_sel:[0,1] op_sel_hi:[1,0] neg_lo:[0,1] neg_hi:[0,1]
	v_mov_b32_e32 v52, v54
	v_mov_b32_e32 v53, v41
	;; [unrolled: 1-line block ×3, first 2 shown]
	ds_write2_b64 v146, v[42:43], v[52:53] offset1:90
	ds_write_b64 v146, v[40:41] offset:1440
	s_and_saveexec_b64 s[6:7], s[4:5]
	s_cbranch_execz .LBB0_15
; %bb.14:
	v_mov_b32_e32 v40, v120
	v_mov_b32_e32 v41, v119
	v_add_u32_e32 v42, 0x1000, v147
	ds_write2_b64 v42, v[114:115], v[40:41] offset0:28 offset1:118
	v_mov_b32_e32 v40, v118
	v_mov_b32_e32 v41, v121
	ds_write_b64 v147, v[40:41] offset:5760
.LBB0_15:
	s_or_b64 exec, exec, s[6:7]
	v_add_u32_e32 v40, 0x400, v80
	s_waitcnt lgkmcnt(0)
	s_barrier
	ds_read2_b64 v[68:71], v40 offset0:34 offset1:142
	v_add_u32_e32 v40, 0x1000, v80
	ds_read2_b64 v[72:75], v40 offset0:28 offset1:109
	v_add_u32_e32 v40, 0x800, v80
	ds_read2_b64 v[64:67], v80 offset1:81
	ds_read2_b64 v[76:79], v40 offset0:95 offset1:176
	ds_read_b64 v[122:123], v80 offset:5616
	s_and_saveexec_b64 s[6:7], s[2:3]
	s_xor_b64 s[6:7], exec, s[6:7]
	s_or_saveexec_b64 s[6:7], s[6:7]
	v_lshl_add_u64 v[40:41], s[0:1], 0, v[116:117]
	s_xor_b64 exec, exec, s[6:7]
	s_cbranch_execz .LBB0_17
; %bb.16:
	ds_read_b64 v[42:43], v80 offset:4104
	ds_read_b64 v[118:119], v80 offset:6264
	;; [unrolled: 1-line block ×3, first 2 shown]
	s_waitcnt lgkmcnt(2)
	v_mov_b32_e32 v120, v42
	s_waitcnt lgkmcnt(1)
	v_mov_b32_e32 v121, v119
	v_mov_b32_e32 v119, v43
.LBB0_17:
	s_or_b64 exec, exec, s[6:7]
	global_load_dwordx4 v[52:55], v[40:41], off offset:2136
	v_lshlrev_b32_e32 v40, 4, v112
	s_movk_i32 s6, 0xffe5
	global_load_dwordx4 v[56:59], v40, s[0:1] offset:2136
	v_lshlrev_b32_e32 v40, 4, v110
	s_mov_b32 s7, -1
	global_load_dwordx4 v[60:63], v40, s[0:1] offset:2136
	v_lshl_add_u64 v[40:41], v[86:87], 0, s[6:7]
	v_cndmask_b32_e64 v41, v41, v109, s[4:5]
	v_cndmask_b32_e64 v40, v40, v108, s[4:5]
	v_lshl_add_u64 v[40:41], v[40:41], 4, s[0:1]
	global_load_dwordx4 v[40:43], v[40:41], off offset:2136
	s_mov_b32 s0, 0x3f5db3d7
	s_movk_i32 s6, 0x1000
	s_waitcnt vmcnt(3) lgkmcnt(4)
	v_pk_mul_f32 v[108:109], v[70:71], v[52:53] op_sel:[0,1]
	v_mov_b32_e32 v110, v55
	v_pk_fma_f32 v[112:113], v[70:71], v[52:53], v[108:109] op_sel:[0,0,1] op_sel_hi:[1,1,0] neg_lo:[0,0,1] neg_hi:[0,0,1]
	v_pk_fma_f32 v[70:71], v[70:71], v[52:53], v[108:109] op_sel:[0,0,1] op_sel_hi:[1,0,0]
	s_waitcnt lgkmcnt(3)
	v_pk_mul_f32 v[108:109], v[72:73], v[110:111] op_sel_hi:[1,0]
	s_waitcnt vmcnt(2) lgkmcnt(1)
	v_pk_mul_f32 v[110:111], v[76:77], v[56:57] op_sel:[0,1]
	v_mov_b32_e32 v70, v59
	s_waitcnt vmcnt(1)
	v_pk_mul_f32 v[116:117], v[78:79], v[60:61] op_sel:[0,1]
	v_mov_b32_e32 v124, v63
	v_mov_b32_e32 v113, v71
	v_pk_fma_f32 v[126:127], v[72:73], v[54:55], v[108:109] op_sel:[0,0,1] op_sel_hi:[1,1,0] neg_lo:[0,0,1] neg_hi:[0,0,1]
	v_pk_fma_f32 v[72:73], v[72:73], v[54:55], v[108:109] op_sel:[0,0,1] op_sel_hi:[1,0,0]
	v_pk_fma_f32 v[108:109], v[76:77], v[56:57], v[110:111] op_sel:[0,0,1] op_sel_hi:[1,1,0] neg_lo:[0,0,1] neg_hi:[0,0,1]
	v_pk_fma_f32 v[76:77], v[76:77], v[56:57], v[110:111] op_sel:[0,0,1] op_sel_hi:[1,0,0]
	v_pk_mul_f32 v[70:71], v[74:75], v[70:71] op_sel_hi:[1,0]
	v_pk_fma_f32 v[110:111], v[78:79], v[60:61], v[116:117] op_sel:[0,0,1] op_sel_hi:[1,1,0] neg_lo:[0,0,1] neg_hi:[0,0,1]
	v_pk_fma_f32 v[78:79], v[78:79], v[60:61], v[116:117] op_sel:[0,0,1] op_sel_hi:[1,0,0]
	s_waitcnt lgkmcnt(0)
	v_pk_mul_f32 v[116:117], v[122:123], v[124:125] op_sel_hi:[1,0]
	v_mov_b32_e32 v127, v73
	v_pk_add_f32 v[72:73], v[64:65], v[112:113]
	v_mov_b32_e32 v109, v77
	v_pk_fma_f32 v[76:77], v[74:75], v[58:59], v[70:71] op_sel:[0,0,1] op_sel_hi:[1,1,0] neg_lo:[0,0,1] neg_hi:[0,0,1]
	v_pk_fma_f32 v[70:71], v[74:75], v[58:59], v[70:71] op_sel:[0,0,1] op_sel_hi:[1,0,0]
	v_mov_b32_e32 v111, v79
	v_pk_fma_f32 v[74:75], v[122:123], v[62:63], v[116:117] op_sel:[0,0,1] op_sel_hi:[1,1,0] neg_lo:[0,0,1] neg_hi:[0,0,1]
	v_pk_fma_f32 v[78:79], v[122:123], v[62:63], v[116:117] op_sel:[0,0,1] op_sel_hi:[1,0,0]
	s_waitcnt vmcnt(0)
	v_pk_mul_f32 v[116:117], v[118:119], v[40:41] op_sel:[1,0]
	v_pk_mul_f32 v[122:123], v[120:121], v[42:43] op_sel:[1,0]
	v_pk_add_f32 v[72:73], v[72:73], v[126:127]
	v_pk_add_f32 v[124:125], v[112:113], v[126:127]
	v_pk_add_f32 v[112:113], v[112:113], v[126:127] neg_lo:[0,1] neg_hi:[0,1]
	v_mov_b32_e32 v77, v71
	v_pk_add_f32 v[70:71], v[66:67], v[108:109]
	v_pk_fma_f32 v[126:127], v[120:121], v[40:41], v[116:117] op_sel:[0,0,1] op_sel_hi:[1,1,0] neg_lo:[0,0,1] neg_hi:[0,0,1]
	v_pk_fma_f32 v[116:117], v[120:121], v[40:41], v[116:117] op_sel:[0,0,1] op_sel_hi:[0,1,0]
	v_pk_fma_f32 v[120:121], v[118:119], v[42:43], v[122:123] op_sel:[0,0,1] op_sel_hi:[1,1,0] neg_lo:[0,0,1] neg_hi:[0,0,1]
	v_pk_fma_f32 v[118:119], v[118:119], v[42:43], v[122:123] op_sel:[0,0,1] op_sel_hi:[0,1,0]
	v_mov_b32_e32 v75, v79
	v_pk_add_f32 v[78:79], v[68:69], v[110:111]
	v_pk_fma_f32 v[64:65], v[124:125], 0.5, v[64:65] op_sel_hi:[1,0,1] neg_lo:[1,0,0] neg_hi:[1,0,0]
	v_pk_mul_f32 v[112:113], v[112:113], s[0:1] op_sel_hi:[1,0]
	v_pk_add_f32 v[70:71], v[70:71], v[76:77]
	v_pk_add_f32 v[122:123], v[108:109], v[76:77]
	v_pk_add_f32 v[76:77], v[108:109], v[76:77] neg_lo:[0,1] neg_hi:[0,1]
	v_mov_b32_e32 v127, v117
	v_mov_b32_e32 v121, v119
	v_pk_add_f32 v[78:79], v[78:79], v[74:75]
	v_pk_add_f32 v[108:109], v[110:111], v[74:75]
	v_pk_add_f32 v[74:75], v[110:111], v[74:75] neg_lo:[0,1] neg_hi:[0,1]
	v_pk_add_f32 v[110:111], v[64:65], v[112:113] op_sel:[0,1] op_sel_hi:[1,0]
	v_pk_add_f32 v[64:65], v[64:65], v[112:113] op_sel:[0,1] op_sel_hi:[1,0] neg_lo:[0,1] neg_hi:[0,1]
	v_pk_fma_f32 v[66:67], v[122:123], 0.5, v[66:67] op_sel_hi:[1,0,1] neg_lo:[1,0,0] neg_hi:[1,0,0]
	v_pk_mul_f32 v[76:77], v[76:77], s[0:1] op_sel_hi:[1,0]
	v_pk_add_f32 v[112:113], v[126:127], v[120:121]
	v_pk_add_f32 v[116:117], v[126:127], v[120:121] neg_lo:[0,1] neg_hi:[0,1]
	v_pk_fma_f32 v[68:69], v[108:109], 0.5, v[68:69] op_sel_hi:[1,0,1] neg_lo:[1,0,0] neg_hi:[1,0,0]
	v_pk_mul_f32 v[74:75], v[74:75], s[0:1] op_sel_hi:[1,0]
	v_mov_b32_e32 v118, v110
	v_mov_b32_e32 v119, v65
	;; [unrolled: 1-line block ×3, first 2 shown]
	v_pk_add_f32 v[110:111], v[66:67], v[76:77] op_sel:[0,1] op_sel_hi:[1,0]
	v_pk_add_f32 v[76:77], v[66:67], v[76:77] op_sel:[0,1] op_sel_hi:[1,0] neg_lo:[0,1] neg_hi:[0,1]
	v_pk_fma_f32 v[66:67], v[112:113], 0.5, v[114:115] op_sel_hi:[1,0,1] neg_lo:[1,0,0] neg_hi:[1,0,0]
	v_pk_mul_f32 v[112:113], v[116:117], s[0:1] op_sel_hi:[1,0]
	v_pk_add_f32 v[108:109], v[114:115], v[126:127]
	ds_write_b64 v80, v[118:119] offset:2160
	ds_write_b64 v80, v[64:65] offset:4320
	ds_write2_b64 v80, v[72:73], v[70:71] offset1:81
	v_pk_add_f32 v[70:71], v[66:67], v[112:113] op_sel:[0,1] op_sel_hi:[1,0]
	v_pk_add_f32 v[112:113], v[66:67], v[112:113] op_sel:[0,1] op_sel_hi:[1,0] neg_lo:[0,1] neg_hi:[0,1]
	v_pk_add_f32 v[66:67], v[68:69], v[74:75] op_sel:[0,1] op_sel_hi:[1,0]
	v_pk_add_f32 v[68:69], v[68:69], v[74:75] op_sel:[0,1] op_sel_hi:[1,0] neg_lo:[0,1] neg_hi:[0,1]
	v_pk_add_f32 v[108:109], v[108:109], v[120:121]
	v_mov_b32_e32 v64, v110
	v_mov_b32_e32 v65, v77
	v_mov_b32_e32 v77, v111
	v_mov_b32_e32 v114, v70
	v_mov_b32_e32 v115, v113
	v_mov_b32_e32 v113, v71
	v_mov_b32_e32 v70, v66
	v_mov_b32_e32 v71, v69
	v_add_u32_e32 v66, 0x800, v80
	v_mov_b32_e32 v69, v67
	v_add_u32_e32 v67, 0x1000, v80
	ds_write_b64 v80, v[78:79] offset:1296
	ds_write2_b64 v66, v[64:65], v[70:71] offset0:95 offset1:176
	ds_write2_b64 v67, v[76:77], v[68:69] offset0:109 offset1:190
	s_and_saveexec_b64 s[0:1], s[4:5]
	s_cbranch_execz .LBB0_19
; %bb.18:
	ds_write_b64 v80, v[108:109] offset:1944
	ds_write_b64 v80, v[114:115] offset:4104
	ds_write_b64 v80, v[112:113] offset:6264
.LBB0_19:
	s_or_b64 exec, exec, s[0:1]
	v_lshlrev_b32_e32 v64, 3, v86
	v_mov_b32_e32 v65, 0
	v_lshl_add_u64 v[68:69], s[14:15], 0, v[64:65]
	s_mov_b64 s[0:1], 0x1950
	v_lshl_add_u64 v[64:65], v[68:69], 0, s[0:1]
	s_movk_i32 s0, 0x2000
	v_add_co_u32_e64 v72, s[0:1], s0, v68
	s_waitcnt lgkmcnt(0)
	s_barrier
	v_addc_co_u32_e64 v73, s[0:1], 0, v69, s[0:1]
	global_load_dwordx2 v[74:75], v[64:65], off offset:648
	global_load_dwordx2 v[78:79], v[72:73], off offset:3904
	v_add_co_u32_e32 v70, vcc, 0x1000, v68
	v_add_u32_e32 v68, 0x400, v80
	s_nop 0
	v_addc_co_u32_e32 v71, vcc, 0, v69, vcc
	global_load_dwordx2 v[76:77], v[70:71], off offset:2384
	global_load_dwordx2 v[110:111], v[64:65], off offset:2160
	;; [unrolled: 1-line block ×4, first 2 shown]
                                        ; kill: killed $vgpr70 killed $vgpr71
	global_load_dwordx2 v[124:125], v[72:73], off offset:3256
	global_load_dwordx2 v[126:127], v[64:65], off offset:1296
	;; [unrolled: 1-line block ×3, first 2 shown]
	ds_read2_b64 v[70:73], v80 offset1:81
	ds_read_b64 v[116:117], v80 offset:5616
	v_add_u32_e32 v69, 0xc00, v80
	s_waitcnt vmcnt(8) lgkmcnt(1)
	v_mul_f32_e32 v87, v73, v75
	v_mul_f32_e32 v131, v72, v75
	s_waitcnt vmcnt(7) lgkmcnt(0)
	v_mul_f32_e32 v118, v117, v79
	v_mul_f32_e32 v133, v116, v79
	s_waitcnt vmcnt(6)
	v_mul_f32_e32 v79, v71, v77
	v_mul_f32_e32 v75, v70, v77
	v_fma_f32 v130, v72, v74, -v87
	v_fmac_f32_e32 v131, v73, v74
	v_fma_f32 v74, v70, v76, -v79
	v_fmac_f32_e32 v75, v71, v76
	ds_write_b64 v80, v[74:75]
	ds_read2_b64 v[70:73], v68 offset0:34 offset1:142
	v_fma_f32 v132, v116, v78, -v118
	ds_read2_b64 v[74:77], v67 offset0:28 offset1:109
	v_fmac_f32_e32 v133, v117, v78
	ds_read2_b64 v[116:119], v66 offset0:95 offset1:176
	s_waitcnt vmcnt(5) lgkmcnt(2)
	v_mul_f32_e32 v78, v73, v111
	v_mul_f32_e32 v79, v72, v111
	s_waitcnt vmcnt(4) lgkmcnt(1)
	v_mul_f32_e32 v87, v75, v121
	v_mul_f32_e32 v111, v74, v121
	;; [unrolled: 3-line block ×3, first 2 shown]
	s_waitcnt vmcnt(2)
	v_mul_f32_e32 v135, v77, v125
	v_mul_f32_e32 v123, v76, v125
	s_waitcnt vmcnt(1)
	v_mul_f32_e32 v136, v71, v127
	v_mul_f32_e32 v125, v70, v127
	;; [unrolled: 3-line block ×3, first 2 shown]
	v_fma_f32 v78, v72, v110, -v78
	v_fmac_f32_e32 v79, v73, v110
	v_fma_f32 v110, v74, v120, -v87
	v_fmac_f32_e32 v111, v75, v120
	;; [unrolled: 2-line block ×6, first 2 shown]
	ds_write2_b64 v66, v[78:79], v[120:121] offset0:14 offset1:95
	ds_write2_b64 v80, v[130:131], v[124:125] offset0:81 offset1:162
	ds_write2_b64 v69, v[126:127], v[110:111] offset0:48 offset1:156
	ds_write2_b64 v67, v[122:123], v[132:133] offset0:109 offset1:190
	s_and_saveexec_b64 s[0:1], s[4:5]
	s_cbranch_execz .LBB0_21
; %bb.20:
	global_load_dwordx2 v[66:67], v[64:65], off offset:1944
	v_add_co_u32_e32 v64, vcc, s6, v64
	s_nop 1
	v_addc_co_u32_e32 v65, vcc, 0, v65, vcc
	global_load_dwordx2 v[70:71], v[64:65], off offset:8
	global_load_dwordx2 v[72:73], v[64:65], off offset:2168
	ds_read_b64 v[64:65], v80 offset:1944
	ds_read_b64 v[74:75], v80 offset:4104
	;; [unrolled: 1-line block ×3, first 2 shown]
	s_waitcnt vmcnt(2) lgkmcnt(2)
	v_mul_f32_e32 v69, v65, v67
	v_mul_f32_e32 v79, v64, v67
	v_fma_f32 v78, v64, v66, -v69
	v_fmac_f32_e32 v79, v65, v66
	ds_write_b64 v80, v[78:79] offset:1944
	s_waitcnt vmcnt(1) lgkmcnt(2)
	v_mul_f32_e32 v64, v75, v71
	v_mul_f32_e32 v65, v74, v71
	s_waitcnt vmcnt(0) lgkmcnt(1)
	v_mul_f32_e32 v66, v77, v73
	v_mul_f32_e32 v67, v76, v73
	v_fma_f32 v64, v74, v70, -v64
	v_fmac_f32_e32 v65, v75, v70
	v_fma_f32 v66, v76, v72, -v66
	v_fmac_f32_e32 v67, v77, v72
	ds_write_b64 v80, v[64:65] offset:4104
	ds_write_b64 v80, v[66:67] offset:6264
.LBB0_21:
	s_or_b64 exec, exec, s[0:1]
	s_waitcnt lgkmcnt(0)
	s_barrier
	ds_read2_b64 v[72:75], v80 offset1:81
	ds_read2_b64 v[64:67], v68 offset0:34 offset1:142
	v_add_u32_e32 v68, 0x1000, v80
	ds_read2_b64 v[76:79], v68 offset0:28 offset1:109
	v_add_u32_e32 v68, 0x800, v80
	ds_read2_b64 v[68:71], v68 offset0:95 offset1:176
	ds_read_b64 v[136:137], v80 offset:5616
	s_and_saveexec_b64 s[0:1], s[4:5]
	s_cbranch_execz .LBB0_23
; %bb.22:
	ds_read_b64 v[108:109], v80 offset:1944
	ds_read_b64 v[114:115], v80 offset:4104
	ds_read_b64 v[112:113], v80 offset:6264
.LBB0_23:
	s_or_b64 exec, exec, s[0:1]
	s_waitcnt lgkmcnt(0)
	v_pk_add_f32 v[110:111], v[114:115], v[112:113]
	v_pk_add_f32 v[116:117], v[114:115], v[112:113] neg_lo:[0,1] neg_hi:[0,1]
	v_pk_fma_f32 v[154:155], v[110:111], 0.5, v[108:109] op_sel_hi:[1,0,1] neg_lo:[1,0,0] neg_hi:[1,0,0]
	s_mov_b32 s0, 0x3f5db3d7
	v_pk_add_f32 v[148:149], v[72:73], v[66:67]
	v_pk_fma_f32 v[110:111], v[116:117], s[0:1], v[154:155] op_sel:[0,0,1] op_sel_hi:[1,0,0]
	v_pk_fma_f32 v[116:117], v[116:117], s[0:1], v[154:155] op_sel:[0,0,1] op_sel_hi:[1,0,0] neg_lo:[1,0,0] neg_hi:[1,0,0]
	v_pk_add_f32 v[154:155], v[66:67], v[76:77]
	v_pk_add_f32 v[66:67], v[66:67], v[76:77] neg_lo:[0,1] neg_hi:[0,1]
	v_pk_fma_f32 v[72:73], v[154:155], 0.5, v[72:73] op_sel_hi:[1,0,1] neg_lo:[1,0,0] neg_hi:[1,0,0]
	v_pk_mul_f32 v[66:67], v[66:67], s[0:1] op_sel_hi:[1,0]
	v_pk_add_f32 v[148:149], v[148:149], v[76:77]
	v_pk_add_f32 v[76:77], v[72:73], v[66:67] op_sel:[0,1] op_sel_hi:[1,0] neg_lo:[0,1] neg_hi:[0,1]
	v_pk_add_f32 v[66:67], v[72:73], v[66:67] op_sel:[0,1] op_sel_hi:[1,0]
	v_mov_b32_e32 v72, v76
	v_mov_b32_e32 v73, v67
	v_pk_add_f32 v[150:151], v[74:75], v[68:69]
	s_barrier
	ds_write2_b64 v97, v[148:149], v[72:73] offset1:1
	v_pk_add_f32 v[72:73], v[68:69], v[78:79]
	v_pk_add_f32 v[68:69], v[68:69], v[78:79] neg_lo:[0,1] neg_hi:[0,1]
	v_pk_fma_f32 v[72:73], v[72:73], 0.5, v[74:75] op_sel_hi:[1,0,1] neg_lo:[1,0,0] neg_hi:[1,0,0]
	v_pk_mul_f32 v[68:69], v[68:69], s[0:1] op_sel_hi:[1,0]
	v_mov_b32_e32 v67, v77
	v_pk_add_f32 v[74:75], v[72:73], v[68:69] op_sel:[0,1] op_sel_hi:[1,0] neg_lo:[0,1] neg_hi:[0,1]
	v_pk_add_f32 v[68:69], v[72:73], v[68:69] op_sel:[0,1] op_sel_hi:[1,0]
	ds_write_b64 v97, v[66:67] offset:16
	v_mov_b32_e32 v73, v69
	v_mov_b32_e32 v69, v75
	ds_write_b64 v138, v[68:69] offset:16
	v_pk_add_f32 v[68:69], v[70:71], v[136:137]
	v_pk_add_f32 v[152:153], v[64:65], v[70:71]
	v_pk_fma_f32 v[64:65], v[68:69], 0.5, v[64:65] op_sel_hi:[1,0,1] neg_lo:[1,0,0] neg_hi:[1,0,0]
	v_pk_add_f32 v[68:69], v[70:71], v[136:137] neg_lo:[0,1] neg_hi:[0,1]
	v_pk_add_f32 v[66:67], v[150:151], v[78:79]
	v_pk_mul_f32 v[68:69], v[68:69], s[0:1] op_sel_hi:[1,0]
	v_mov_b32_e32 v72, v74
	v_pk_add_f32 v[70:71], v[64:65], v[68:69] op_sel:[0,1] op_sel_hi:[1,0] neg_lo:[0,1] neg_hi:[0,1]
	v_pk_add_f32 v[64:65], v[64:65], v[68:69] op_sel:[0,1] op_sel_hi:[1,0]
	v_mov_b32_e32 v126, v14
	v_mov_b32_e32 v127, v14
	v_mov_b32_e32 v14, v15
	v_mov_b32_e32 v122, v10
	v_mov_b32_e32 v123, v10
	v_mov_b32_e32 v10, v11
	v_mov_b32_e32 v120, v6
	v_mov_b32_e32 v121, v6
	v_mov_b32_e32 v6, v7
	v_mov_b32_e32 v118, v2
	v_mov_b32_e32 v119, v2
	v_mov_b32_e32 v2, v3
	v_mov_b32_e32 v134, v12
	v_mov_b32_e32 v135, v12
	v_mov_b32_e32 v12, v13
	v_mov_b32_e32 v132, v8
	v_mov_b32_e32 v133, v8
	v_mov_b32_e32 v8, v9
	v_mov_b32_e32 v130, v4
	v_mov_b32_e32 v131, v4
	v_mov_b32_e32 v4, v5
	v_mov_b32_e32 v128, v0
	v_mov_b32_e32 v129, v0
	v_mov_b32_e32 v0, v1
	v_mov_b32_e32 v124, v106
	v_mov_b32_e32 v125, v106
	v_mov_b32_e32 v106, v107
	ds_write2_b64 v138, v[66:67], v[72:73] offset1:1
	v_pk_add_f32 v[66:67], v[152:153], v[136:137]
	v_mov_b32_e32 v68, v70
	v_mov_b32_e32 v69, v65
	;; [unrolled: 1-line block ×3, first 2 shown]
	ds_write2_b64 v139, v[66:67], v[68:69] offset1:1
	ds_write_b64 v139, v[64:65] offset:16
	s_and_saveexec_b64 s[0:1], s[4:5]
	s_cbranch_execz .LBB0_25
; %bb.24:
	v_pk_add_f32 v[64:65], v[108:109], v[114:115]
	v_lshlrev_b32_e32 v68, 3, v140
	v_pk_add_f32 v[64:65], v[64:65], v[112:113]
	v_mov_b32_e32 v66, v117
	v_mov_b32_e32 v67, v110
	ds_write2_b64 v68, v[64:65], v[66:67] offset1:1
	v_mov_b32_e32 v64, v111
	v_mov_b32_e32 v65, v116
	ds_write_b64 v68, v[64:65] offset:16
.LBB0_25:
	s_or_b64 exec, exec, s[0:1]
	v_add_u32_e32 v87, 0x800, v80
	v_add_u32_e32 v97, 0x1000, v80
	s_waitcnt lgkmcnt(0)
	s_barrier
	ds_read2_b64 v[64:67], v80 offset1:81
	ds_read2_b64 v[68:71], v80 offset0:162 offset1:243
	ds_read2_b64 v[72:75], v87 offset0:68 offset1:149
	v_add_u32_e32 v76, 0xc00, v80
	ds_read2_b64 v[112:115], v97 offset0:136 offset1:217
	ds_read2_b64 v[76:79], v76 offset0:102 offset1:183
	s_waitcnt lgkmcnt(4)
	v_pk_mul_f32 v[12:13], v[12:13], v[66:67]
	s_waitcnt lgkmcnt(3)
	v_pk_mul_f32 v[14:15], v[14:15], v[68:69]
	;; [unrolled: 2-line block ×4, first 2 shown]
	v_pk_fma_f32 v[108:109], v[134:135], v[66:67], v[12:13] op_sel:[0,0,1] op_sel_hi:[1,1,0]
	v_pk_fma_f32 v[12:13], v[134:135], v[66:67], v[12:13] op_sel:[0,0,1] op_sel_hi:[1,1,0] neg_lo:[0,0,1] neg_hi:[0,0,1]
	v_pk_fma_f32 v[134:135], v[126:127], v[68:69], v[14:15] op_sel:[0,0,1] op_sel_hi:[1,1,0]
	v_pk_fma_f32 v[14:15], v[126:127], v[68:69], v[14:15] op_sel:[0,0,1] op_sel_hi:[1,1,0] neg_lo:[0,0,1] neg_hi:[0,0,1]
	v_pk_mul_f32 v[8:9], v[8:9], v[70:71]
	v_pk_fma_f32 v[68:69], v[122:123], v[72:73], v[10:11] op_sel:[0,0,1] op_sel_hi:[1,1,0]
	v_pk_fma_f32 v[10:11], v[122:123], v[72:73], v[10:11] op_sel:[0,0,1] op_sel_hi:[1,1,0] neg_lo:[0,0,1] neg_hi:[0,0,1]
	s_waitcnt lgkmcnt(0)
	v_pk_mul_f32 v[6:7], v[6:7], v[76:77]
	v_pk_fma_f32 v[72:73], v[118:119], v[112:113], v[2:3] op_sel:[0,0,1] op_sel_hi:[1,1,0]
	v_pk_fma_f32 v[2:3], v[118:119], v[112:113], v[2:3] op_sel:[0,0,1] op_sel_hi:[1,1,0] neg_lo:[0,0,1] neg_hi:[0,0,1]
	v_mov_b32_e32 v135, v15
	v_pk_fma_f32 v[14:15], v[132:133], v[70:71], v[8:9] op_sel:[0,0,1] op_sel_hi:[1,1,0]
	v_pk_fma_f32 v[8:9], v[132:133], v[70:71], v[8:9] op_sel:[0,0,1] op_sel_hi:[1,1,0] neg_lo:[0,0,1] neg_hi:[0,0,1]
	v_pk_mul_f32 v[4:5], v[4:5], v[74:75]
	v_pk_fma_f32 v[70:71], v[120:121], v[76:77], v[6:7] op_sel:[0,0,1] op_sel_hi:[1,1,0]
	v_pk_fma_f32 v[6:7], v[120:121], v[76:77], v[6:7] op_sel:[0,0,1] op_sel_hi:[1,1,0] neg_lo:[0,0,1] neg_hi:[0,0,1]
	v_pk_mul_f32 v[0:1], v[0:1], v[78:79]
	v_mov_b32_e32 v73, v3
	v_pk_mul_f32 v[2:3], v[106:107], v[114:115]
	v_mov_b32_e32 v69, v11
	v_pk_fma_f32 v[10:11], v[130:131], v[74:75], v[4:5] op_sel:[0,0,1] op_sel_hi:[1,1,0]
	v_mov_b32_e32 v71, v7
	v_pk_fma_f32 v[6:7], v[128:129], v[78:79], v[0:1] op_sel:[0,0,1] op_sel_hi:[1,1,0]
	v_pk_fma_f32 v[66:67], v[124:125], v[114:115], v[2:3] op_sel:[0,0,1] op_sel_hi:[1,1,0]
	v_pk_fma_f32 v[2:3], v[124:125], v[114:115], v[2:3] op_sel:[0,0,1] op_sel_hi:[1,1,0] neg_lo:[0,0,1] neg_hi:[0,0,1]
	v_mov_b32_e32 v112, v14
	v_mov_b32_e32 v113, v66
	v_mov_b32_e32 v114, v10
	v_mov_b32_e32 v115, v6
	v_pk_fma_f32 v[4:5], v[130:131], v[74:75], v[4:5] op_sel:[0,0,1] op_sel_hi:[1,1,0] neg_lo:[0,0,1] neg_hi:[0,0,1]
	v_pk_fma_f32 v[0:1], v[128:129], v[78:79], v[0:1] op_sel:[0,0,1] op_sel_hi:[1,1,0] neg_lo:[0,0,1] neg_hi:[0,0,1]
	v_pk_add_f32 v[118:119], v[112:113], v[114:115] neg_lo:[0,1] neg_hi:[0,1]
	v_mov_b32_e32 v11, v5
	v_mov_b32_e32 v7, v1
	;; [unrolled: 1-line block ×5, first 2 shown]
	v_pk_add_f32 v[76:77], v[10:11], v[6:7]
	v_pk_add_f32 v[106:107], v[10:11], v[6:7] neg_lo:[0,1] neg_hi:[0,1]
	v_pk_add_f32 v[118:119], v[118:119], v[0:1]
	v_fma_f32 v2, -0.5, v76, v108
	v_pk_add_f32 v[78:79], v[14:15], v[66:67] neg_lo:[0,1] neg_hi:[0,1]
	v_mov_b32_e32 v119, v107
	s_mov_b32 s1, 0x3f167918
	s_mov_b32 s0, 0x3e9e377a
	v_fmamk_f32 v4, v79, 0xbf737871, v2
	v_pk_mul_f32 v[118:119], v[118:119], s[0:1]
	v_fmac_f32_e32 v2, 0x3f737871, v79
	v_sub_f32_e32 v0, v4, v119
	v_add_f32_e32 v4, v118, v0
	v_add_f32_e32 v0, v119, v2
	v_pk_add_f32 v[112:113], v[114:115], v[112:113] neg_lo:[0,1] neg_hi:[0,1]
	v_add_f32_e32 v8, v118, v0
	v_mov_b32_e32 v0, v113
	v_pk_add_f32 v[118:119], v[14:15], v[66:67]
	v_mov_b32_e32 v2, v108
	v_pk_add_f32 v[112:113], v[112:113], v[0:1]
	v_fmac_f32_e32 v2, -0.5, v118
	v_mov_b32_e32 v113, v79
	v_fmamk_f32 v12, v107, 0x3f737871, v2
	v_pk_mul_f32 v[112:113], v[112:113], s[0:1]
	v_mov_b32_e32 v109, v13
	v_sub_f32_e32 v0, v12, v113
	v_fmac_f32_e32 v2, 0xbf737871, v107
	v_add_f32_e32 v12, v112, v0
	v_add_f32_e32 v0, v113, v2
	v_pk_add_f32 v[14:15], v[108:109], v[14:15]
	v_add_f32_e32 v76, v112, v0
	v_pk_add_f32 v[10:11], v[14:15], v[10:11]
	v_mov_b32_e32 v2, v9
	v_mov_b32_e32 v0, v5
	v_pk_add_f32 v[6:7], v[10:11], v[6:7]
	v_pk_add_f32 v[10:11], v[2:3], v[0:1] neg_lo:[0,1] neg_hi:[0,1]
	v_fma_f32 v15, -0.5, v77, v13
	v_mov_b32_e32 v14, v11
	v_pk_add_f32 v[10:11], v[10:11], v[14:15]
	v_pk_add_f32 v[6:7], v[6:7], v[66:67]
	v_mov_b32_e32 v11, v106
	v_fmamk_f32 v66, v78, 0x3f737871, v15
	v_pk_mul_f32 v[10:11], v[10:11], s[0:1]
	v_fmac_f32_e32 v15, 0xbf737871, v78
	v_add_f32_e32 v5, v11, v66
	v_add_f32_e32 v14, v10, v5
	v_sub_f32_e32 v5, v15, v11
	v_add_f32_e32 v10, v10, v5
	s_mov_b32 s17, 0x3f4f1bbd
	s_mov_b32 s16, s1
	v_fmac_f32_e32 v13, -0.5, v119
	v_pk_add_f32 v[0:1], v[0:1], v[2:3] neg_lo:[0,1] neg_hi:[0,1]
	s_mov_b32 s14, 0xbf4f1bbd
	s_mov_b32 s15, s1
	v_pk_mul_f32 v[10:11], v[10:11], s[16:17] op_sel_hi:[0,1]
	s_mov_b32 s6, 0x3f737871
	v_fmamk_f32 v5, v106, 0xbf737871, v13
	v_mov_b32_e32 v2, v1
	v_fmac_f32_e32 v13, 0x3f737871, v106
	v_pk_fma_f32 v[8:9], v[8:9], s[14:15], v[10:11] op_sel_hi:[0,1,1] neg_lo:[0,0,1] neg_hi:[0,0,1]
	v_pk_add_f32 v[10:11], v[68:69], v[70:71]
	v_pk_add_f32 v[106:107], v[134:135], v[72:73] neg_lo:[0,1] neg_hi:[0,1]
	v_pk_add_f32 v[0:1], v[0:1], v[2:3]
	v_pk_fma_f32 v[10:11], v[10:11], 0.5, v[64:65] op_sel_hi:[1,0,1] neg_lo:[1,0,0] neg_hi:[1,0,0]
	v_pk_mul_f32 v[66:67], v[106:107], s[6:7] op_sel_hi:[1,0]
	v_pk_add_f32 v[112:113], v[68:69], v[70:71] neg_lo:[0,1] neg_hi:[0,1]
	s_mov_b32 s14, s1
	v_pk_add_f32 v[74:75], v[64:65], v[134:135]
	v_mov_b32_e32 v1, v78
	v_pk_add_f32 v[108:109], v[10:11], v[66:67] op_sel:[0,1] op_sel_hi:[1,0]
	v_pk_mul_f32 v[114:115], v[112:113], s[14:15] op_sel_hi:[1,0]
	v_pk_add_f32 v[10:11], v[10:11], v[66:67] op_sel:[0,1] op_sel_hi:[1,0] neg_lo:[0,1] neg_hi:[0,1]
	v_pk_add_f32 v[74:75], v[74:75], v[68:69]
	v_pk_mul_f32 v[0:1], v[0:1], s[0:1]
	v_pk_add_f32 v[108:109], v[114:115], v[108:109] op_sel:[1,0] op_sel_hi:[0,1]
	v_pk_add_f32 v[10:11], v[10:11], v[114:115] op_sel:[0,1] op_sel_hi:[1,0] neg_lo:[0,1] neg_hi:[0,1]
	v_pk_add_f32 v[114:115], v[134:135], v[68:69] neg_lo:[0,1] neg_hi:[0,1]
	v_pk_add_f32 v[118:119], v[72:73], v[70:71] neg_lo:[0,1] neg_hi:[0,1]
	s_mov_b32 s18, s17
	s_mov_b32 s19, s1
	v_pk_mul_f32 v[14:15], v[14:15], s[16:17] op_sel_hi:[0,1]
	v_pk_add_f32 v[74:75], v[74:75], v[70:71]
	v_add_f32_e32 v2, v1, v5
	v_mov_b32_e32 v66, v10
	v_mov_b32_e32 v67, v109
	v_pk_add_f32 v[114:115], v[114:115], v[118:119]
	v_pk_fma_f32 v[120:121], v[4:5], s[18:19], v[14:15] neg_lo:[0,0,1] neg_hi:[0,0,1]
	v_pk_fma_f32 v[4:5], v[4:5], s[18:19], v[14:15] op_sel_hi:[0,1,1]
	v_pk_add_f32 v[74:75], v[74:75], v[72:73]
	v_pk_fma_f32 v[118:119], v[114:115], s[0:1], v[66:67] op_sel_hi:[1,0,1]
	v_mov_b32_e32 v121, v5
	v_pk_add_f32 v[78:79], v[74:75], v[6:7]
	v_pk_add_f32 v[4:5], v[118:119], v[120:121]
	v_add_f32_e32 v2, v0, v2
	s_barrier
	v_mov_b32_e32 v109, v11
	ds_write2_b64 v81, v[78:79], v[4:5] offset1:3
	v_pk_add_f32 v[4:5], v[134:135], v[72:73]
	s_mov_b32 s7, s0
	v_pk_fma_f32 v[10:11], v[114:115], s[0:1], v[108:109] op_sel_hi:[1,0,1]
	v_pk_fma_f32 v[4:5], v[4:5], 0.5, v[64:65] op_sel_hi:[1,0,1] neg_lo:[1,0,0] neg_hi:[1,0,0]
	v_pk_add_f32 v[14:15], v[68:69], v[134:135] neg_lo:[0,1] neg_hi:[0,1]
	v_pk_add_f32 v[64:65], v[70:71], v[72:73] neg_lo:[0,1] neg_hi:[0,1]
	s_mov_b32 s1, s6
	v_pk_mul_f32 v[2:3], v[2:3], s[6:7] op_sel_hi:[0,1]
	v_pk_add_f32 v[14:15], v[14:15], v[64:65]
	v_pk_fma_f32 v[64:65], v[12:13], s[0:1], v[2:3] neg_lo:[0,0,1] neg_hi:[0,0,1]
	v_pk_fma_f32 v[2:3], v[12:13], s[0:1], v[2:3] op_sel_hi:[0,1,1]
	v_mov_b32_e32 v65, v3
	v_pk_mul_f32 v[2:3], v[112:113], s[6:7] op_sel_hi:[1,0]
	v_sub_f32_e32 v1, v13, v1
	v_pk_mul_f32 v[12:13], v[106:107], s[14:15] op_sel_hi:[1,0]
	v_pk_add_f32 v[68:69], v[4:5], v[2:3] op_sel:[0,1] op_sel_hi:[1,0]
	v_pk_add_f32 v[2:3], v[4:5], v[2:3] op_sel:[0,1] op_sel_hi:[1,0] neg_lo:[0,1] neg_hi:[0,1]
	v_add_f32_e32 v0, v0, v1
	v_pk_add_f32 v[2:3], v[2:3], v[12:13] op_sel:[0,1] op_sel_hi:[1,0]
	v_pk_add_f32 v[4:5], v[68:69], v[12:13] op_sel:[0,1] op_sel_hi:[1,0] neg_lo:[0,1] neg_hi:[0,1]
	v_mov_b32_e32 v13, v3
	v_mov_b32_e32 v12, v4
	s_mov_b32 s14, 0xbe9e377a
	s_mov_b32 s15, s6
	v_pk_mul_f32 v[0:1], v[0:1], s[6:7] op_sel_hi:[0,1]
	v_mov_b32_e32 v3, v5
	v_pk_fma_f32 v[12:13], v[14:15], s[0:1], v[12:13] op_sel_hi:[1,0,1]
	v_pk_fma_f32 v[0:1], v[76:77], s[14:15], v[0:1] op_sel_hi:[0,1,1] neg_lo:[0,0,1] neg_hi:[0,0,1]
	v_pk_fma_f32 v[2:3], v[14:15], s[0:1], v[2:3] op_sel_hi:[1,0,1]
	v_pk_add_f32 v[68:69], v[12:13], v[64:65]
	v_pk_add_f32 v[4:5], v[2:3], v[0:1]
	v_pk_add_f32 v[66:67], v[10:11], v[8:9] neg_lo:[0,1] neg_hi:[0,1]
	ds_write2_b64 v81, v[68:69], v[4:5] offset0:6 offset1:9
	v_pk_add_f32 v[4:5], v[10:11], v[8:9]
	v_pk_add_f32 v[6:7], v[74:75], v[6:7] neg_lo:[0,1] neg_hi:[0,1]
	v_pk_add_f32 v[0:1], v[2:3], v[0:1] neg_lo:[0,1] neg_hi:[0,1]
	ds_write2_b64 v81, v[4:5], v[6:7] offset0:12 offset1:15
	v_pk_add_f32 v[4:5], v[118:119], v[120:121] neg_lo:[0,1] neg_hi:[0,1]
	v_pk_add_f32 v[6:7], v[12:13], v[64:65] neg_lo:[0,1] neg_hi:[0,1]
	ds_write2_b64 v81, v[0:1], v[66:67] offset0:24 offset1:27
	v_add_u32_e32 v0, 0x400, v80
	ds_write2_b64 v81, v[4:5], v[6:7] offset0:18 offset1:21
	s_waitcnt lgkmcnt(0)
	s_barrier
	ds_read2_b64 v[8:11], v80 offset1:81
	ds_read2_b64 v[0:3], v0 offset0:34 offset1:142
	ds_read2_b64 v[12:15], v97 offset0:28 offset1:109
	;; [unrolled: 1-line block ×3, first 2 shown]
	ds_read_b64 v[64:65], v80 offset:5616
	s_and_saveexec_b64 s[0:1], s[2:3]
	s_xor_b64 s[0:1], exec, s[0:1]
	s_or_saveexec_b64 s[0:1], s[0:1]
	v_mov_b32_e32 v78, v20
	v_mov_b32_e32 v79, v20
	;; [unrolled: 1-line block ×18, first 2 shown]
	s_xor_b64 exec, exec, s[0:1]
	s_cbranch_execz .LBB0_27
; %bb.26:
	ds_read_b64 v[106:107], v80 offset:4104
	ds_read_b64 v[108:109], v80 offset:6264
	;; [unrolled: 1-line block ×3, first 2 shown]
	s_waitcnt lgkmcnt(2)
	v_mov_b32_e32 v110, v107
	s_waitcnt lgkmcnt(1)
	v_mov_b32_e32 v111, v108
	v_mov_b32_e32 v116, v109
	;; [unrolled: 1-line block ×3, first 2 shown]
.LBB0_27:
	s_or_b64 exec, exec, s[0:1]
	s_waitcnt lgkmcnt(3)
	v_pk_mul_f32 v[106:107], v[20:21], v[2:3]
	v_pk_mul_f32 v[20:21], v[16:17], v[110:111] op_sel_hi:[1,0]
	v_pk_mul_f32 v[108:109], v[18:19], v[116:117] op_sel_hi:[1,0]
	v_pk_fma_f32 v[112:113], v[16:17], v[116:117], v[20:21] op_sel:[0,1,1] op_sel_hi:[1,1,0]
	v_pk_fma_f32 v[16:17], v[16:17], v[116:117], v[20:21] op_sel:[0,1,1] op_sel_hi:[1,1,0] neg_lo:[1,0,0] neg_hi:[1,0,0]
	s_mov_b32 s0, 0x3f5db3d7
	v_mov_b32_e32 v113, v17
	v_pk_fma_f32 v[16:17], v[18:19], v[110:111], v[108:109] op_sel:[0,1,1] op_sel_hi:[1,1,0]
	v_pk_fma_f32 v[18:19], v[18:19], v[110:111], v[108:109] op_sel:[0,1,1] op_sel_hi:[1,1,0] neg_lo:[1,0,0] neg_hi:[1,0,0]
	s_waitcnt lgkmcnt(2)
	v_pk_mul_f32 v[22:23], v[22:23], v[12:13]
	v_mov_b32_e32 v17, v19
	s_waitcnt lgkmcnt(0)
	v_pk_add_f32 v[18:19], v[66:67], v[112:113]
	v_pk_add_f32 v[20:21], v[112:113], v[16:17]
	;; [unrolled: 1-line block ×3, first 2 shown]
	v_pk_add_f32 v[16:17], v[112:113], v[16:17] neg_lo:[0,1] neg_hi:[0,1]
	v_pk_fma_f32 v[20:21], v[20:21], 0.5, v[66:67] op_sel_hi:[1,0,1] neg_lo:[1,0,0] neg_hi:[1,0,0]
	v_pk_mul_f32 v[66:67], v[16:17], s[0:1] op_sel_hi:[1,0]
	v_pk_mul_f32 v[24:25], v[24:25], v[4:5]
	v_pk_add_f32 v[16:17], v[66:67], v[20:21] op_sel:[1,0] op_sel_hi:[0,1]
	v_pk_add_f32 v[20:21], v[20:21], v[66:67] op_sel:[0,1] op_sel_hi:[1,0] neg_lo:[0,1] neg_hi:[0,1]
	v_pk_fma_f32 v[66:67], v[78:79], v[2:3], v[106:107] op_sel:[0,0,1] op_sel_hi:[1,1,0]
	v_pk_fma_f32 v[2:3], v[78:79], v[2:3], v[106:107] op_sel:[0,0,1] op_sel_hi:[1,1,0] neg_lo:[0,0,1] neg_hi:[0,0,1]
	v_pk_mul_f32 v[26:27], v[26:27], v[14:15]
	v_mov_b32_e32 v67, v3
	v_pk_fma_f32 v[2:3], v[76:77], v[12:13], v[22:23] op_sel:[0,0,1] op_sel_hi:[1,1,0]
	v_pk_fma_f32 v[12:13], v[76:77], v[12:13], v[22:23] op_sel:[0,0,1] op_sel_hi:[1,1,0] neg_lo:[0,0,1] neg_hi:[0,0,1]
	s_nop 0
	v_mov_b32_e32 v3, v13
	v_pk_add_f32 v[12:13], v[8:9], v[66:67]
	v_pk_add_f32 v[22:23], v[66:67], v[2:3]
	v_pk_add_f32 v[12:13], v[12:13], v[2:3]
	v_pk_add_f32 v[2:3], v[66:67], v[2:3] neg_lo:[0,1] neg_hi:[0,1]
	v_pk_fma_f32 v[8:9], v[22:23], 0.5, v[8:9] op_sel_hi:[1,0,1] neg_lo:[1,0,0] neg_hi:[1,0,0]
	v_pk_mul_f32 v[2:3], v[2:3], s[0:1] op_sel_hi:[1,0]
	s_barrier
	v_pk_add_f32 v[22:23], v[8:9], v[2:3] op_sel:[0,1] op_sel_hi:[1,0] neg_lo:[0,1] neg_hi:[0,1]
	v_pk_add_f32 v[2:3], v[8:9], v[2:3] op_sel:[0,1] op_sel_hi:[1,0]
	s_nop 0
	v_mov_b32_e32 v9, v3
	v_mov_b32_e32 v3, v23
	;; [unrolled: 1-line block ×3, first 2 shown]
	ds_write_b64 v142, v[2:3] offset:480
	v_pk_fma_f32 v[2:3], v[74:75], v[4:5], v[24:25] op_sel:[0,0,1] op_sel_hi:[1,1,0]
	v_pk_fma_f32 v[4:5], v[74:75], v[4:5], v[24:25] op_sel:[0,0,1] op_sel_hi:[1,1,0] neg_lo:[0,0,1] neg_hi:[0,0,1]
	ds_write2_b64 v142, v[12:13], v[8:9] offset1:30
	v_mov_b32_e32 v3, v5
	v_pk_fma_f32 v[4:5], v[72:73], v[14:15], v[26:27] op_sel:[0,0,1] op_sel_hi:[1,1,0]
	v_pk_fma_f32 v[8:9], v[72:73], v[14:15], v[26:27] op_sel:[0,0,1] op_sel_hi:[1,1,0] neg_lo:[0,0,1] neg_hi:[0,0,1]
	v_pk_mul_f32 v[28:29], v[28:29], v[6:7]
	v_mov_b32_e32 v5, v9
	v_pk_add_f32 v[8:9], v[10:11], v[2:3]
	v_pk_add_f32 v[12:13], v[2:3], v[4:5]
	v_pk_add_f32 v[2:3], v[2:3], v[4:5] neg_lo:[0,1] neg_hi:[0,1]
	v_pk_fma_f32 v[10:11], v[12:13], 0.5, v[10:11] op_sel_hi:[1,0,1] neg_lo:[1,0,0] neg_hi:[1,0,0]
	v_pk_mul_f32 v[2:3], v[2:3], s[0:1] op_sel_hi:[1,0]
	v_pk_add_f32 v[8:9], v[8:9], v[4:5]
	v_pk_add_f32 v[4:5], v[10:11], v[2:3] op_sel:[0,1] op_sel_hi:[1,0] neg_lo:[0,1] neg_hi:[0,1]
	v_pk_add_f32 v[2:3], v[10:11], v[2:3] op_sel:[0,1] op_sel_hi:[1,0]
	v_pk_mul_f32 v[30:31], v[30:31], v[64:65]
	v_mov_b32_e32 v11, v3
	v_mov_b32_e32 v3, v5
	;; [unrolled: 1-line block ×3, first 2 shown]
	ds_write_b64 v141, v[2:3] offset:480
	v_pk_fma_f32 v[2:3], v[70:71], v[6:7], v[28:29] op_sel:[0,0,1] op_sel_hi:[1,1,0]
	v_pk_fma_f32 v[4:5], v[70:71], v[6:7], v[28:29] op_sel:[0,0,1] op_sel_hi:[1,1,0] neg_lo:[0,0,1] neg_hi:[0,0,1]
	v_pk_fma_f32 v[6:7], v[68:69], v[64:65], v[30:31] op_sel:[0,0,1] op_sel_hi:[1,1,0] neg_lo:[0,0,1] neg_hi:[0,0,1]
	v_mov_b32_e32 v3, v5
	v_pk_fma_f32 v[4:5], v[68:69], v[64:65], v[30:31] op_sel:[0,0,1] op_sel_hi:[1,1,0]
	ds_write2_b64 v141, v[8:9], v[10:11] offset1:30
	v_mov_b32_e32 v5, v7
	v_pk_add_f32 v[6:7], v[0:1], v[2:3]
	v_pk_add_f32 v[8:9], v[2:3], v[4:5]
	v_pk_add_f32 v[2:3], v[2:3], v[4:5] neg_lo:[0,1] neg_hi:[0,1]
	v_pk_fma_f32 v[0:1], v[8:9], 0.5, v[0:1] op_sel_hi:[1,0,1] neg_lo:[1,0,0] neg_hi:[1,0,0]
	v_pk_mul_f32 v[2:3], v[2:3], s[0:1] op_sel_hi:[1,0]
	v_pk_add_f32 v[6:7], v[6:7], v[4:5]
	v_pk_add_f32 v[4:5], v[0:1], v[2:3] op_sel:[0,1] op_sel_hi:[1,0] neg_lo:[0,1] neg_hi:[0,1]
	v_pk_add_f32 v[0:1], v[0:1], v[2:3] op_sel:[0,1] op_sel_hi:[1,0]
	v_mov_b32_e32 v2, v4
	v_mov_b32_e32 v3, v1
	v_mov_b32_e32 v1, v5
	ds_write2_b64 v143, v[6:7], v[2:3] offset1:30
	ds_write_b64 v143, v[0:1] offset:480
	s_and_saveexec_b64 s[0:1], s[4:5]
	s_cbranch_execz .LBB0_29
; %bb.28:
	v_mov_b32_e32 v0, v20
	v_mov_b32_e32 v1, v17
	v_add_u32_e32 v2, 0x1000, v144
	ds_write2_b64 v2, v[18:19], v[0:1] offset0:208 offset1:238
	v_mov_b32_e32 v0, v16
	v_mov_b32_e32 v1, v21
	ds_write_b64 v144, v[0:1] offset:6240
.LBB0_29:
	s_or_b64 exec, exec, s[0:1]
	v_add_u32_e32 v4, 0x1000, v80
	s_waitcnt lgkmcnt(0)
	s_barrier
	v_add_u32_e32 v0, 0x400, v80
	ds_read2_b64 v[12:15], v4 offset0:28 offset1:109
	v_add_u32_e32 v4, 0x800, v80
	ds_read2_b64 v[8:11], v80 offset1:81
	ds_read2_b64 v[0:3], v0 offset0:34 offset1:142
	ds_read2_b64 v[4:7], v4 offset0:95 offset1:176
	ds_read_b64 v[22:23], v80 offset:5616
	s_and_saveexec_b64 s[0:1], s[2:3]
	s_xor_b64 s[0:1], exec, s[0:1]
	s_or_saveexec_b64 s[0:1], s[0:1]
	v_mov_b32_e32 v66, v32
	v_mov_b32_e32 v67, v32
	;; [unrolled: 1-line block ×18, first 2 shown]
	s_xor_b64 exec, exec, s[0:1]
	s_cbranch_execz .LBB0_31
; %bb.30:
	ds_read_b64 v[68:69], v80 offset:6264
	ds_read_b64 v[20:21], v80 offset:4104
	;; [unrolled: 1-line block ×3, first 2 shown]
	s_waitcnt lgkmcnt(2)
	v_mov_b32_e32 v16, v68
	s_waitcnt lgkmcnt(1)
	v_mov_b32_e32 v17, v21
	v_mov_b32_e32 v21, v69
.LBB0_31:
	s_or_b64 exec, exec, s[0:1]
	v_pk_mul_f32 v[68:69], v[44:45], v[16:17] op_sel:[0,1]
	v_pk_mul_f32 v[70:71], v[46:47], v[20:21] op_sel:[0,1]
	v_pk_fma_f32 v[72:73], v[44:45], v[20:21], v[68:69] op_sel:[0,0,1] op_sel_hi:[1,1,0]
	v_pk_fma_f32 v[20:21], v[44:45], v[20:21], v[68:69] op_sel:[0,0,1] op_sel_hi:[1,0,0] neg_lo:[1,0,0] neg_hi:[1,0,0]
	s_mov_b32 s0, 0x3f5db3d7
	v_mov_b32_e32 v73, v21
	v_pk_fma_f32 v[20:21], v[46:47], v[16:17], v[70:71] op_sel:[0,0,1] op_sel_hi:[1,1,0]
	v_pk_fma_f32 v[16:17], v[46:47], v[16:17], v[70:71] op_sel:[0,0,1] op_sel_hi:[1,0,0] neg_lo:[1,0,0] neg_hi:[1,0,0]
	s_waitcnt lgkmcnt(2)
	v_pk_mul_f32 v[32:33], v[32:33], v[2:3]
	v_mov_b32_e32 v21, v17
	v_pk_add_f32 v[44:45], v[72:73], v[20:21]
	s_waitcnt lgkmcnt(0)
	v_pk_add_f32 v[16:17], v[18:19], v[72:73]
	v_pk_fma_f32 v[44:45], v[44:45], 0.5, v[18:19] op_sel_hi:[1,0,1] neg_lo:[1,0,0] neg_hi:[1,0,0]
	v_pk_add_f32 v[18:19], v[72:73], v[20:21] neg_lo:[0,1] neg_hi:[0,1]
	v_pk_add_f32 v[16:17], v[16:17], v[20:21]
	v_pk_mul_f32 v[20:21], v[18:19], s[0:1] op_sel_hi:[1,0]
	v_pk_mul_f32 v[34:35], v[34:35], v[12:13]
	v_pk_add_f32 v[18:19], v[20:21], v[44:45] op_sel:[1,0] op_sel_hi:[0,1]
	v_pk_add_f32 v[20:21], v[44:45], v[20:21] op_sel:[0,1] op_sel_hi:[1,0] neg_lo:[0,1] neg_hi:[0,1]
	v_pk_fma_f32 v[44:45], v[66:67], v[2:3], v[32:33] op_sel:[0,0,1] op_sel_hi:[1,1,0]
	v_pk_fma_f32 v[2:3], v[66:67], v[2:3], v[32:33] op_sel:[0,0,1] op_sel_hi:[1,1,0] neg_lo:[0,0,1] neg_hi:[0,0,1]
	v_pk_mul_f32 v[36:37], v[36:37], v[4:5]
	v_mov_b32_e32 v45, v3
	v_pk_fma_f32 v[2:3], v[64:65], v[12:13], v[34:35] op_sel:[0,0,1] op_sel_hi:[1,1,0]
	v_pk_fma_f32 v[12:13], v[64:65], v[12:13], v[34:35] op_sel:[0,0,1] op_sel_hi:[1,1,0] neg_lo:[0,0,1] neg_hi:[0,0,1]
	v_pk_mul_f32 v[38:39], v[38:39], v[14:15]
	v_mov_b32_e32 v3, v13
	v_pk_add_f32 v[12:13], v[44:45], v[2:3]
	v_pk_add_f32 v[32:33], v[44:45], v[2:3] neg_lo:[0,1] neg_hi:[0,1]
	v_pk_fma_f32 v[12:13], v[12:13], 0.5, v[8:9] op_sel_hi:[1,0,1] neg_lo:[1,0,0] neg_hi:[1,0,0]
	v_pk_mul_f32 v[32:33], v[32:33], s[0:1] op_sel_hi:[1,0]
	v_pk_add_f32 v[8:9], v[8:9], v[44:45]
	v_pk_add_f32 v[34:35], v[12:13], v[32:33] op_sel:[0,1] op_sel_hi:[1,0]
	v_pk_add_f32 v[12:13], v[12:13], v[32:33] op_sel:[0,1] op_sel_hi:[1,0] neg_lo:[0,1] neg_hi:[0,1]
	v_pk_add_f32 v[2:3], v[8:9], v[2:3]
	v_mov_b32_e32 v8, v12
	v_mov_b32_e32 v9, v35
	s_barrier
	ds_write2_b64 v80, v[2:3], v[8:9] offset1:90
	v_pk_fma_f32 v[2:3], v[30:31], v[4:5], v[36:37] op_sel:[0,0,1] op_sel_hi:[1,1,0]
	v_pk_fma_f32 v[4:5], v[30:31], v[4:5], v[36:37] op_sel:[0,0,1] op_sel_hi:[1,1,0] neg_lo:[0,0,1] neg_hi:[0,0,1]
	v_pk_fma_f32 v[8:9], v[28:29], v[14:15], v[38:39] op_sel:[0,0,1] op_sel_hi:[1,1,0] neg_lo:[0,0,1] neg_hi:[0,0,1]
	v_mov_b32_e32 v3, v5
	v_pk_fma_f32 v[4:5], v[28:29], v[14:15], v[38:39] op_sel:[0,0,1] op_sel_hi:[1,1,0]
	v_mov_b32_e32 v35, v13
	v_mov_b32_e32 v5, v9
	v_pk_add_f32 v[8:9], v[10:11], v[2:3]
	v_pk_add_f32 v[12:13], v[2:3], v[4:5]
	v_pk_add_f32 v[2:3], v[2:3], v[4:5] neg_lo:[0,1] neg_hi:[0,1]
	v_pk_fma_f32 v[10:11], v[12:13], 0.5, v[10:11] op_sel_hi:[1,0,1] neg_lo:[1,0,0] neg_hi:[1,0,0]
	v_pk_mul_f32 v[2:3], v[2:3], s[0:1] op_sel_hi:[1,0]
	v_pk_add_f32 v[8:9], v[8:9], v[4:5]
	v_pk_add_f32 v[4:5], v[10:11], v[2:3] op_sel:[0,1] op_sel_hi:[1,0] neg_lo:[0,1] neg_hi:[0,1]
	v_pk_add_f32 v[2:3], v[10:11], v[2:3] op_sel:[0,1] op_sel_hi:[1,0]
	v_pk_mul_f32 v[48:49], v[48:49], v[6:7]
	v_mov_b32_e32 v11, v3
	v_mov_b32_e32 v3, v5
	v_pk_mul_f32 v[50:51], v[50:51], v[22:23]
	ds_write_b64 v80, v[34:35] offset:1440
	v_mov_b32_e32 v10, v4
	ds_write_b64 v145, v[2:3] offset:1440
	v_pk_fma_f32 v[2:3], v[26:27], v[6:7], v[48:49] op_sel:[0,0,1] op_sel_hi:[1,1,0]
	v_pk_fma_f32 v[4:5], v[26:27], v[6:7], v[48:49] op_sel:[0,0,1] op_sel_hi:[1,1,0] neg_lo:[0,0,1] neg_hi:[0,0,1]
	v_pk_fma_f32 v[6:7], v[24:25], v[22:23], v[50:51] op_sel:[0,0,1] op_sel_hi:[1,1,0] neg_lo:[0,0,1] neg_hi:[0,0,1]
	v_mov_b32_e32 v3, v5
	v_pk_fma_f32 v[4:5], v[24:25], v[22:23], v[50:51] op_sel:[0,0,1] op_sel_hi:[1,1,0]
	ds_write2_b64 v145, v[8:9], v[10:11] offset1:90
	v_mov_b32_e32 v5, v7
	v_pk_add_f32 v[6:7], v[0:1], v[2:3]
	v_pk_add_f32 v[8:9], v[2:3], v[4:5]
	v_pk_add_f32 v[2:3], v[2:3], v[4:5] neg_lo:[0,1] neg_hi:[0,1]
	v_pk_fma_f32 v[0:1], v[8:9], 0.5, v[0:1] op_sel_hi:[1,0,1] neg_lo:[1,0,0] neg_hi:[1,0,0]
	v_pk_mul_f32 v[2:3], v[2:3], s[0:1] op_sel_hi:[1,0]
	v_pk_add_f32 v[6:7], v[6:7], v[4:5]
	v_pk_add_f32 v[4:5], v[0:1], v[2:3] op_sel:[0,1] op_sel_hi:[1,0] neg_lo:[0,1] neg_hi:[0,1]
	v_pk_add_f32 v[0:1], v[0:1], v[2:3] op_sel:[0,1] op_sel_hi:[1,0]
	v_mov_b32_e32 v2, v4
	v_mov_b32_e32 v3, v1
	;; [unrolled: 1-line block ×3, first 2 shown]
	ds_write2_b64 v146, v[6:7], v[2:3] offset1:90
	ds_write_b64 v146, v[0:1] offset:1440
	s_and_saveexec_b64 s[0:1], s[4:5]
	s_cbranch_execz .LBB0_33
; %bb.32:
	v_mov_b32_e32 v0, v20
	v_mov_b32_e32 v1, v19
	v_add_u32_e32 v2, 0x1000, v147
	ds_write2_b64 v2, v[16:17], v[0:1] offset0:28 offset1:118
	v_mov_b32_e32 v0, v18
	v_mov_b32_e32 v1, v21
	ds_write_b64 v147, v[0:1] offset:5760
.LBB0_33:
	s_or_b64 exec, exec, s[0:1]
	v_add_u32_e32 v4, 0x1000, v80
	s_waitcnt lgkmcnt(0)
	s_barrier
	v_add_u32_e32 v0, 0x400, v80
	ds_read2_b64 v[12:15], v4 offset0:28 offset1:109
	v_add_u32_e32 v4, 0x800, v80
	ds_read2_b64 v[8:11], v80 offset1:81
	ds_read2_b64 v[0:3], v0 offset0:34 offset1:142
	ds_read2_b64 v[4:7], v4 offset0:95 offset1:176
	ds_read_b64 v[22:23], v80 offset:5616
	s_and_saveexec_b64 s[0:1], s[2:3]
	s_xor_b64 s[0:1], exec, s[0:1]
	s_or_saveexec_b64 s[0:1], s[0:1]
	v_mov_b32_e32 v34, v52
	v_mov_b32_e32 v35, v52
	;; [unrolled: 1-line block ×18, first 2 shown]
	s_xor_b64 exec, exec, s[0:1]
	s_cbranch_execz .LBB0_35
; %bb.34:
	ds_read_b64 v[36:37], v80 offset:6264
	ds_read_b64 v[20:21], v80 offset:4104
	;; [unrolled: 1-line block ×3, first 2 shown]
	s_waitcnt lgkmcnt(2)
	v_mov_b32_e32 v18, v36
	s_waitcnt lgkmcnt(1)
	v_mov_b32_e32 v19, v21
	v_mov_b32_e32 v21, v37
.LBB0_35:
	s_or_b64 exec, exec, s[0:1]
	s_waitcnt lgkmcnt(2)
	v_pk_mul_f32 v[36:37], v[52:53], v[2:3]
	v_pk_mul_f32 v[38:39], v[54:55], v[12:13]
	v_pk_fma_f32 v[52:53], v[34:35], v[2:3], v[36:37] op_sel:[0,0,1] op_sel_hi:[1,1,0]
	v_pk_fma_f32 v[2:3], v[34:35], v[2:3], v[36:37] op_sel:[0,0,1] op_sel_hi:[1,1,0] neg_lo:[0,0,1] neg_hi:[0,0,1]
	s_mov_b32 s0, 0x3f5db3d7
	v_mov_b32_e32 v53, v3
	v_pk_fma_f32 v[2:3], v[32:33], v[12:13], v[38:39] op_sel:[0,0,1] op_sel_hi:[1,1,0]
	v_pk_fma_f32 v[12:13], v[32:33], v[12:13], v[38:39] op_sel:[0,0,1] op_sel_hi:[1,1,0] neg_lo:[0,0,1] neg_hi:[0,0,1]
	s_waitcnt lgkmcnt(1)
	v_pk_mul_f32 v[44:45], v[56:57], v[4:5]
	v_mov_b32_e32 v3, v13
	v_pk_add_f32 v[12:13], v[8:9], v[52:53]
	v_pk_add_f32 v[32:33], v[52:53], v[2:3]
	;; [unrolled: 1-line block ×3, first 2 shown]
	v_pk_add_f32 v[2:3], v[52:53], v[2:3] neg_lo:[0,1] neg_hi:[0,1]
	v_pk_fma_f32 v[8:9], v[32:33], 0.5, v[8:9] op_sel_hi:[1,0,1] neg_lo:[1,0,0] neg_hi:[1,0,0]
	v_pk_mul_f32 v[2:3], v[2:3], s[0:1] op_sel_hi:[1,0]
	v_pk_mul_f32 v[46:47], v[58:59], v[14:15]
	v_pk_add_f32 v[32:33], v[8:9], v[2:3] op_sel:[0,1] op_sel_hi:[1,0] neg_lo:[0,1] neg_hi:[0,1]
	v_pk_add_f32 v[2:3], v[8:9], v[2:3] op_sel:[0,1] op_sel_hi:[1,0]
	v_mov_b32_e32 v8, v32
	v_mov_b32_e32 v9, v3
	v_mov_b32_e32 v3, v33
	ds_write_b64 v80, v[2:3] offset:4320
	v_pk_fma_f32 v[2:3], v[30:31], v[4:5], v[44:45] op_sel:[0,0,1] op_sel_hi:[1,1,0]
	v_pk_fma_f32 v[4:5], v[30:31], v[4:5], v[44:45] op_sel:[0,0,1] op_sel_hi:[1,1,0] neg_lo:[0,0,1] neg_hi:[0,0,1]
	ds_write_b64 v80, v[8:9] offset:2160
	v_mov_b32_e32 v3, v5
	v_pk_fma_f32 v[4:5], v[28:29], v[14:15], v[46:47] op_sel:[0,0,1] op_sel_hi:[1,1,0]
	v_pk_fma_f32 v[8:9], v[28:29], v[14:15], v[46:47] op_sel:[0,0,1] op_sel_hi:[1,1,0] neg_lo:[0,0,1] neg_hi:[0,0,1]
	v_pk_mul_f32 v[48:49], v[60:61], v[6:7]
	v_mov_b32_e32 v5, v9
	v_pk_add_f32 v[8:9], v[10:11], v[2:3]
	s_waitcnt lgkmcnt(2)
	v_pk_mul_f32 v[50:51], v[62:63], v[22:23]
	v_pk_add_f32 v[8:9], v[8:9], v[4:5]
	ds_write2_b64 v80, v[12:13], v[8:9] offset1:81
	v_pk_add_f32 v[8:9], v[2:3], v[4:5]
	v_pk_add_f32 v[2:3], v[2:3], v[4:5] neg_lo:[0,1] neg_hi:[0,1]
	v_pk_fma_f32 v[8:9], v[8:9], 0.5, v[10:11] op_sel_hi:[1,0,1] neg_lo:[1,0,0] neg_hi:[1,0,0]
	v_pk_mul_f32 v[2:3], v[2:3], s[0:1] op_sel_hi:[1,0]
	v_pk_fma_f32 v[10:11], v[24:25], v[22:23], v[50:51] op_sel:[0,0,1] op_sel_hi:[1,1,0] neg_lo:[0,0,1] neg_hi:[0,0,1]
	v_pk_add_f32 v[4:5], v[8:9], v[2:3] op_sel:[0,1] op_sel_hi:[1,0] neg_lo:[0,1] neg_hi:[0,1]
	v_pk_add_f32 v[2:3], v[8:9], v[2:3] op_sel:[0,1] op_sel_hi:[1,0]
	v_mov_b32_e32 v8, v4
	v_mov_b32_e32 v9, v3
	;; [unrolled: 1-line block ×3, first 2 shown]
	v_pk_fma_f32 v[4:5], v[26:27], v[6:7], v[48:49] op_sel:[0,0,1] op_sel_hi:[1,1,0]
	v_pk_fma_f32 v[6:7], v[26:27], v[6:7], v[48:49] op_sel:[0,0,1] op_sel_hi:[1,1,0] neg_lo:[0,0,1] neg_hi:[0,0,1]
	s_nop 0
	v_mov_b32_e32 v5, v7
	v_pk_fma_f32 v[6:7], v[24:25], v[22:23], v[50:51] op_sel:[0,0,1] op_sel_hi:[1,1,0]
	s_nop 0
	v_mov_b32_e32 v7, v11
	v_pk_add_f32 v[10:11], v[0:1], v[4:5]
	s_nop 0
	v_pk_add_f32 v[10:11], v[10:11], v[6:7]
	ds_write_b64 v80, v[10:11] offset:1296
	v_pk_add_f32 v[10:11], v[4:5], v[6:7]
	v_pk_add_f32 v[4:5], v[4:5], v[6:7] neg_lo:[0,1] neg_hi:[0,1]
	v_pk_fma_f32 v[0:1], v[10:11], 0.5, v[0:1] op_sel_hi:[1,0,1] neg_lo:[1,0,0] neg_hi:[1,0,0]
	v_pk_mul_f32 v[4:5], v[4:5], s[0:1] op_sel_hi:[1,0]
	s_nop 0
	v_pk_add_f32 v[6:7], v[0:1], v[4:5] op_sel:[0,1] op_sel_hi:[1,0] neg_lo:[0,1] neg_hi:[0,1]
	v_pk_add_f32 v[4:5], v[0:1], v[4:5] op_sel:[0,1] op_sel_hi:[1,0]
	v_mov_b32_e32 v10, v6
	v_mov_b32_e32 v11, v5
	v_add_u32_e32 v0, 0x800, v80
	v_mov_b32_e32 v5, v7
	v_add_u32_e32 v1, 0x1000, v80
	ds_write2_b64 v0, v[8:9], v[10:11] offset0:95 offset1:176
	ds_write2_b64 v1, v[2:3], v[4:5] offset0:109 offset1:190
	s_and_saveexec_b64 s[2:3], s[4:5]
	s_cbranch_execz .LBB0_37
; %bb.36:
	v_pk_mul_f32 v[2:3], v[40:41], v[18:19] op_sel:[0,1]
	v_pk_mul_f32 v[4:5], v[42:43], v[20:21] op_sel:[0,1]
	v_pk_fma_f32 v[6:7], v[40:41], v[20:21], v[2:3] op_sel:[0,0,1] op_sel_hi:[1,1,0]
	v_pk_fma_f32 v[2:3], v[40:41], v[20:21], v[2:3] op_sel:[0,0,1] op_sel_hi:[1,0,0] neg_lo:[1,0,0] neg_hi:[1,0,0]
	s_nop 0
	v_mov_b32_e32 v7, v3
	v_pk_fma_f32 v[2:3], v[42:43], v[18:19], v[4:5] op_sel:[0,0,1] op_sel_hi:[1,1,0]
	v_pk_fma_f32 v[4:5], v[42:43], v[18:19], v[4:5] op_sel:[0,0,1] op_sel_hi:[1,0,0] neg_lo:[1,0,0] neg_hi:[1,0,0]
	s_nop 0
	v_mov_b32_e32 v3, v5
	v_pk_add_f32 v[4:5], v[16:17], v[6:7]
	s_nop 0
	v_pk_add_f32 v[4:5], v[4:5], v[2:3]
	ds_write_b64 v80, v[4:5] offset:1944
	v_pk_add_f32 v[4:5], v[6:7], v[2:3]
	v_pk_add_f32 v[2:3], v[6:7], v[2:3] neg_lo:[0,1] neg_hi:[0,1]
	v_pk_fma_f32 v[4:5], -0.5, v[4:5], v[16:17] op_sel_hi:[0,1,1]
	v_pk_mul_f32 v[2:3], v[2:3], s[0:1] op_sel_hi:[1,0]
	s_nop 0
	v_pk_add_f32 v[6:7], v[4:5], v[2:3] op_sel:[0,1] op_sel_hi:[1,0] neg_lo:[0,1] neg_hi:[0,1]
	v_pk_add_f32 v[2:3], v[4:5], v[2:3] op_sel:[0,1] op_sel_hi:[1,0]
	v_mov_b32_e32 v4, v6
	v_mov_b32_e32 v5, v3
	;; [unrolled: 1-line block ×3, first 2 shown]
	ds_write_b64 v80, v[4:5] offset:4104
	ds_write_b64 v80, v[2:3] offset:6264
.LBB0_37:
	s_or_b64 exec, exec, s[2:3]
	s_waitcnt lgkmcnt(0)
	s_barrier
	ds_read2_b64 v[2:5], v80 offset1:81
	v_mad_u64_u32 v[12:13], s[0:1], s10, v96, 0
	v_mov_b32_e32 v6, v13
	v_mad_u64_u32 v[6:7], s[0:1], s11, v96, v[6:7]
	v_mov_b32_e32 v13, v6
	s_waitcnt lgkmcnt(0)
	v_mul_f32_e32 v6, v105, v3
	v_fmac_f32_e32 v6, v104, v2
	v_mul_f32_e32 v2, v105, v2
	s_mov_b32 s0, 0x30abee4d
	v_fma_f32 v2, v104, v3, -v2
	s_mov_b32 s1, 0x3f543a27
	v_cvt_f64_f32_e32 v[2:3], v2
	v_cvt_f64_f32_e32 v[6:7], v6
	v_mul_f64 v[2:3], v[2:3], s[0:1]
	v_mul_f64 v[6:7], v[6:7], s[0:1]
	v_cvt_f32_f64_e32 v15, v[2:3]
	v_mad_u64_u32 v[2:3], s[2:3], s8, v86, 0
	v_cvt_f32_f64_e32 v14, v[6:7]
	v_mov_b32_e32 v6, v3
	v_add_u32_e32 v3, 0x400, v80
	v_mad_u64_u32 v[16:17], s[2:3], s9, v86, v[6:7]
	ds_read2_b64 v[6:9], v3 offset0:34 offset1:142
	v_mov_b32_e32 v10, s12
	v_mov_b32_e32 v11, s13
	;; [unrolled: 1-line block ×3, first 2 shown]
	v_lshl_add_u64 v[10:11], v[12:13], 3, v[10:11]
	v_lshl_add_u64 v[2:3], v[2:3], 3, v[10:11]
	s_waitcnt lgkmcnt(0)
	v_mul_f32_e32 v10, v103, v9
	v_fmac_f32_e32 v10, v102, v8
	v_mul_f32_e32 v8, v103, v8
	v_fma_f32 v8, v102, v9, -v8
	v_cvt_f64_f32_e32 v[10:11], v10
	v_cvt_f64_f32_e32 v[8:9], v8
	v_mul_f64 v[10:11], v[10:11], s[0:1]
	v_mul_f64 v[8:9], v[8:9], s[0:1]
	v_cvt_f32_f64_e32 v12, v[10:11]
	v_cvt_f32_f64_e32 v13, v[8:9]
	ds_read2_b64 v[8:11], v1 offset0:28 offset1:109
	s_mul_i32 s2, s9, 0x10e
	s_mul_hi_u32 s3, s8, 0x10e
	s_add_i32 s3, s3, s2
	s_mul_i32 s2, s8, 0x10e
	s_lshl_b64 s[2:3], s[2:3], 3
	s_waitcnt lgkmcnt(0)
	v_mul_f32_e32 v1, v99, v9
	global_store_dwordx2 v[2:3], v[14:15], off
	v_lshl_add_u64 v[2:3], v[2:3], 0, s[2:3]
	v_fmac_f32_e32 v1, v98, v8
	global_store_dwordx2 v[2:3], v[12:13], off
	v_cvt_f64_f32_e32 v[12:13], v1
	v_mul_f32_e32 v1, v99, v8
	v_fma_f32 v1, v98, v9, -v1
	v_cvt_f64_f32_e32 v[8:9], v1
	v_mul_f32_e32 v1, v101, v5
	v_mul_f64 v[12:13], v[12:13], s[0:1]
	v_mul_f64 v[8:9], v[8:9], s[0:1]
	v_fmac_f32_e32 v1, v100, v4
	v_cvt_f32_f64_e32 v12, v[12:13]
	v_cvt_f32_f64_e32 v13, v[8:9]
	v_lshl_add_u64 v[8:9], v[2:3], 0, s[2:3]
	v_cvt_f64_f32_e32 v[2:3], v1
	v_mul_f32_e32 v1, v101, v4
	v_mul_f64 v[2:3], v[2:3], s[0:1]
	v_fma_f32 v1, v100, v5, -v1
	global_store_dwordx2 v[8:9], v[12:13], off
	v_cvt_f32_f64_e32 v12, v[2:3]
	v_cvt_f64_f32_e32 v[2:3], v1
	v_mul_f64 v[2:3], v[2:3], s[0:1]
	v_cvt_f32_f64_e32 v13, v[2:3]
	ds_read2_b64 v[0:3], v0 offset0:95 offset1:176
	s_mul_hi_u32 s7, s8, 0xfffffe35
	s_mul_i32 s6, s9, 0xfffffe35
	s_sub_i32 s7, s7, s8
	s_add_i32 s7, s7, s6
	s_mul_i32 s6, s8, 0xfffffe35
	s_lshl_b64 s[8:9], s[6:7], 3
	v_lshl_add_u64 v[4:5], v[8:9], 0, s[8:9]
	s_waitcnt lgkmcnt(0)
	v_mul_f32_e32 v8, v95, v1
	v_fmac_f32_e32 v8, v94, v0
	v_mul_f32_e32 v0, v95, v0
	v_fma_f32 v0, v94, v1, -v0
	v_cvt_f64_f32_e32 v[8:9], v8
	v_cvt_f64_f32_e32 v[0:1], v0
	v_mul_f64 v[8:9], v[8:9], s[0:1]
	v_mul_f64 v[0:1], v[0:1], s[0:1]
	global_store_dwordx2 v[4:5], v[12:13], off
	v_cvt_f32_f64_e32 v8, v[8:9]
	v_cvt_f32_f64_e32 v9, v[0:1]
	v_lshl_add_u64 v[0:1], v[4:5], 0, s[2:3]
	v_mul_f32_e32 v4, v93, v11
	v_fmac_f32_e32 v4, v92, v10
	v_cvt_f64_f32_e32 v[4:5], v4
	v_mul_f64 v[4:5], v[4:5], s[0:1]
	v_cvt_f32_f64_e32 v4, v[4:5]
	v_mul_f32_e32 v5, v93, v10
	v_fma_f32 v5, v92, v11, -v5
	global_store_dwordx2 v[0:1], v[8:9], off
	v_cvt_f64_f32_e32 v[8:9], v5
	v_mul_f64 v[8:9], v[8:9], s[0:1]
	v_cvt_f32_f64_e32 v5, v[8:9]
	v_lshl_add_u64 v[0:1], v[0:1], 0, s[2:3]
	global_store_dwordx2 v[0:1], v[4:5], off
	v_mul_f32_e32 v4, v91, v7
	v_fmac_f32_e32 v4, v90, v6
	v_cvt_f64_f32_e32 v[4:5], v4
	v_mul_f64 v[4:5], v[4:5], s[0:1]
	v_cvt_f32_f64_e32 v4, v[4:5]
	v_mul_f32_e32 v5, v91, v6
	v_fma_f32 v5, v90, v7, -v5
	v_cvt_f64_f32_e32 v[6:7], v5
	v_mul_f64 v[6:7], v[6:7], s[0:1]
	v_cvt_f32_f64_e32 v5, v[6:7]
	v_lshl_add_u64 v[0:1], v[0:1], 0, s[8:9]
	global_store_dwordx2 v[0:1], v[4:5], off
	v_mul_f32_e32 v4, v89, v3
	ds_read_b64 v[6:7], v80 offset:5616
	v_fmac_f32_e32 v4, v88, v2
	v_mul_f32_e32 v2, v89, v2
	v_fma_f32 v2, v88, v3, -v2
	v_cvt_f64_f32_e32 v[4:5], v4
	v_cvt_f64_f32_e32 v[2:3], v2
	v_mul_f64 v[4:5], v[4:5], s[0:1]
	v_mul_f64 v[2:3], v[2:3], s[0:1]
	v_cvt_f32_f64_e32 v4, v[4:5]
	v_cvt_f32_f64_e32 v5, v[2:3]
	s_waitcnt lgkmcnt(0)
	v_mul_f32_e32 v2, v85, v7
	v_fmac_f32_e32 v2, v84, v6
	v_cvt_f64_f32_e32 v[2:3], v2
	v_mul_f64 v[2:3], v[2:3], s[0:1]
	v_cvt_f32_f64_e32 v2, v[2:3]
	v_mul_f32_e32 v3, v85, v6
	v_lshl_add_u64 v[0:1], v[0:1], 0, s[2:3]
	v_fma_f32 v3, v84, v7, -v3
	global_store_dwordx2 v[0:1], v[4:5], off
	v_cvt_f64_f32_e32 v[4:5], v3
	v_mul_f64 v[4:5], v[4:5], s[0:1]
	v_cvt_f32_f64_e32 v3, v[4:5]
	v_lshl_add_u64 v[0:1], v[0:1], 0, s[2:3]
	global_store_dwordx2 v[0:1], v[2:3], off
	s_and_b64 exec, exec, s[4:5]
	s_cbranch_execz .LBB0_39
; %bb.38:
	global_load_dwordx2 v[2:3], v[82:83], off offset:1944
	s_movk_i32 s4, 0x1000
	v_add_co_u32_e32 v4, vcc, s4, v82
	v_lshl_add_u64 v[0:1], s[6:7], 3, v[0:1]
	s_nop 0
	v_addc_co_u32_e32 v5, vcc, 0, v83, vcc
	global_load_dwordx2 v[6:7], v[4:5], off offset:8
	global_load_dwordx2 v[8:9], v[4:5], off offset:2168
	ds_read_b64 v[4:5], v80 offset:1944
	ds_read_b64 v[10:11], v80 offset:4104
	;; [unrolled: 1-line block ×3, first 2 shown]
	v_lshl_add_u64 v[14:15], v[0:1], 0, s[2:3]
	v_lshl_add_u64 v[16:17], v[14:15], 0, s[2:3]
	s_waitcnt vmcnt(2) lgkmcnt(2)
	v_mul_f32_e32 v18, v5, v3
	v_mul_f32_e32 v3, v4, v3
	v_fmac_f32_e32 v18, v4, v2
	v_fma_f32 v4, v2, v5, -v3
	v_cvt_f64_f32_e32 v[2:3], v18
	v_cvt_f64_f32_e32 v[4:5], v4
	s_waitcnt vmcnt(1) lgkmcnt(1)
	v_mul_f32_e32 v18, v11, v7
	v_mul_f32_e32 v7, v10, v7
	s_waitcnt vmcnt(0) lgkmcnt(0)
	v_mul_f32_e32 v19, v13, v9
	v_mul_f32_e32 v9, v12, v9
	v_mul_f64 v[2:3], v[2:3], s[0:1]
	v_mul_f64 v[4:5], v[4:5], s[0:1]
	v_fmac_f32_e32 v18, v10, v6
	v_fma_f32 v6, v6, v11, -v7
	v_fmac_f32_e32 v19, v12, v8
	v_fma_f32 v10, v8, v13, -v9
	v_cvt_f32_f64_e32 v2, v[2:3]
	v_cvt_f32_f64_e32 v3, v[4:5]
	v_cvt_f64_f32_e32 v[4:5], v18
	v_cvt_f64_f32_e32 v[6:7], v6
	;; [unrolled: 1-line block ×4, first 2 shown]
	global_store_dwordx2 v[0:1], v[2:3], off
	v_mul_f64 v[0:1], v[4:5], s[0:1]
	v_mul_f64 v[2:3], v[6:7], s[0:1]
	;; [unrolled: 1-line block ×4, first 2 shown]
	v_cvt_f32_f64_e32 v0, v[0:1]
	v_cvt_f32_f64_e32 v1, v[2:3]
	;; [unrolled: 1-line block ×4, first 2 shown]
	global_store_dwordx2 v[14:15], v[0:1], off
	global_store_dwordx2 v[16:17], v[2:3], off
.LBB0_39:
	s_endpgm
	.section	.rodata,"a",@progbits
	.p2align	6, 0x0
	.amdhsa_kernel bluestein_single_fwd_len810_dim1_sp_op_CI_CI
		.amdhsa_group_segment_fixed_size 6480
		.amdhsa_private_segment_fixed_size 0
		.amdhsa_kernarg_size 104
		.amdhsa_user_sgpr_count 2
		.amdhsa_user_sgpr_dispatch_ptr 0
		.amdhsa_user_sgpr_queue_ptr 0
		.amdhsa_user_sgpr_kernarg_segment_ptr 1
		.amdhsa_user_sgpr_dispatch_id 0
		.amdhsa_user_sgpr_kernarg_preload_length 0
		.amdhsa_user_sgpr_kernarg_preload_offset 0
		.amdhsa_user_sgpr_private_segment_size 0
		.amdhsa_uses_dynamic_stack 0
		.amdhsa_enable_private_segment 0
		.amdhsa_system_sgpr_workgroup_id_x 1
		.amdhsa_system_sgpr_workgroup_id_y 0
		.amdhsa_system_sgpr_workgroup_id_z 0
		.amdhsa_system_sgpr_workgroup_info 0
		.amdhsa_system_vgpr_workitem_id 0
		.amdhsa_next_free_vgpr 156
		.amdhsa_next_free_sgpr 22
		.amdhsa_accum_offset 156
		.amdhsa_reserve_vcc 1
		.amdhsa_float_round_mode_32 0
		.amdhsa_float_round_mode_16_64 0
		.amdhsa_float_denorm_mode_32 3
		.amdhsa_float_denorm_mode_16_64 3
		.amdhsa_dx10_clamp 1
		.amdhsa_ieee_mode 1
		.amdhsa_fp16_overflow 0
		.amdhsa_tg_split 0
		.amdhsa_exception_fp_ieee_invalid_op 0
		.amdhsa_exception_fp_denorm_src 0
		.amdhsa_exception_fp_ieee_div_zero 0
		.amdhsa_exception_fp_ieee_overflow 0
		.amdhsa_exception_fp_ieee_underflow 0
		.amdhsa_exception_fp_ieee_inexact 0
		.amdhsa_exception_int_div_zero 0
	.end_amdhsa_kernel
	.text
.Lfunc_end0:
	.size	bluestein_single_fwd_len810_dim1_sp_op_CI_CI, .Lfunc_end0-bluestein_single_fwd_len810_dim1_sp_op_CI_CI
                                        ; -- End function
	.section	.AMDGPU.csdata,"",@progbits
; Kernel info:
; codeLenInByte = 11956
; NumSgprs: 28
; NumVgprs: 156
; NumAgprs: 0
; TotalNumVgprs: 156
; ScratchSize: 0
; MemoryBound: 0
; FloatMode: 240
; IeeeMode: 1
; LDSByteSize: 6480 bytes/workgroup (compile time only)
; SGPRBlocks: 3
; VGPRBlocks: 19
; NumSGPRsForWavesPerEU: 28
; NumVGPRsForWavesPerEU: 156
; AccumOffset: 156
; Occupancy: 3
; WaveLimiterHint : 1
; COMPUTE_PGM_RSRC2:SCRATCH_EN: 0
; COMPUTE_PGM_RSRC2:USER_SGPR: 2
; COMPUTE_PGM_RSRC2:TRAP_HANDLER: 0
; COMPUTE_PGM_RSRC2:TGID_X_EN: 1
; COMPUTE_PGM_RSRC2:TGID_Y_EN: 0
; COMPUTE_PGM_RSRC2:TGID_Z_EN: 0
; COMPUTE_PGM_RSRC2:TIDIG_COMP_CNT: 0
; COMPUTE_PGM_RSRC3_GFX90A:ACCUM_OFFSET: 38
; COMPUTE_PGM_RSRC3_GFX90A:TG_SPLIT: 0
	.text
	.p2alignl 6, 3212836864
	.fill 256, 4, 3212836864
	.type	__hip_cuid_f8f946101bd7954,@object ; @__hip_cuid_f8f946101bd7954
	.section	.bss,"aw",@nobits
	.globl	__hip_cuid_f8f946101bd7954
__hip_cuid_f8f946101bd7954:
	.byte	0                               ; 0x0
	.size	__hip_cuid_f8f946101bd7954, 1

	.ident	"AMD clang version 19.0.0git (https://github.com/RadeonOpenCompute/llvm-project roc-6.4.0 25133 c7fe45cf4b819c5991fe208aaa96edf142730f1d)"
	.section	".note.GNU-stack","",@progbits
	.addrsig
	.addrsig_sym __hip_cuid_f8f946101bd7954
	.amdgpu_metadata
---
amdhsa.kernels:
  - .agpr_count:     0
    .args:
      - .actual_access:  read_only
        .address_space:  global
        .offset:         0
        .size:           8
        .value_kind:     global_buffer
      - .actual_access:  read_only
        .address_space:  global
        .offset:         8
        .size:           8
        .value_kind:     global_buffer
      - .actual_access:  read_only
        .address_space:  global
        .offset:         16
        .size:           8
        .value_kind:     global_buffer
      - .actual_access:  read_only
        .address_space:  global
        .offset:         24
        .size:           8
        .value_kind:     global_buffer
      - .actual_access:  read_only
        .address_space:  global
        .offset:         32
        .size:           8
        .value_kind:     global_buffer
      - .offset:         40
        .size:           8
        .value_kind:     by_value
      - .address_space:  global
        .offset:         48
        .size:           8
        .value_kind:     global_buffer
      - .address_space:  global
        .offset:         56
        .size:           8
        .value_kind:     global_buffer
      - .address_space:  global
        .offset:         64
        .size:           8
        .value_kind:     global_buffer
      - .address_space:  global
        .offset:         72
        .size:           8
        .value_kind:     global_buffer
      - .offset:         80
        .size:           4
        .value_kind:     by_value
      - .address_space:  global
        .offset:         88
        .size:           8
        .value_kind:     global_buffer
      - .address_space:  global
        .offset:         96
        .size:           8
        .value_kind:     global_buffer
    .group_segment_fixed_size: 6480
    .kernarg_segment_align: 8
    .kernarg_segment_size: 104
    .language:       OpenCL C
    .language_version:
      - 2
      - 0
    .max_flat_workgroup_size: 81
    .name:           bluestein_single_fwd_len810_dim1_sp_op_CI_CI
    .private_segment_fixed_size: 0
    .sgpr_count:     28
    .sgpr_spill_count: 0
    .symbol:         bluestein_single_fwd_len810_dim1_sp_op_CI_CI.kd
    .uniform_work_group_size: 1
    .uses_dynamic_stack: false
    .vgpr_count:     156
    .vgpr_spill_count: 0
    .wavefront_size: 64
amdhsa.target:   amdgcn-amd-amdhsa--gfx950
amdhsa.version:
  - 1
  - 2
...

	.end_amdgpu_metadata
